;; amdgpu-corpus repo=ROCm/rocFFT kind=compiled arch=gfx906 opt=O3
	.text
	.amdgcn_target "amdgcn-amd-amdhsa--gfx906"
	.amdhsa_code_object_version 6
	.protected	fft_rtc_fwd_len1650_factors_11_2_3_5_5_wgs_110_tpt_110_halfLds_sp_op_CI_CI_sbrr_dirReg ; -- Begin function fft_rtc_fwd_len1650_factors_11_2_3_5_5_wgs_110_tpt_110_halfLds_sp_op_CI_CI_sbrr_dirReg
	.globl	fft_rtc_fwd_len1650_factors_11_2_3_5_5_wgs_110_tpt_110_halfLds_sp_op_CI_CI_sbrr_dirReg
	.p2align	8
	.type	fft_rtc_fwd_len1650_factors_11_2_3_5_5_wgs_110_tpt_110_halfLds_sp_op_CI_CI_sbrr_dirReg,@function
fft_rtc_fwd_len1650_factors_11_2_3_5_5_wgs_110_tpt_110_halfLds_sp_op_CI_CI_sbrr_dirReg: ; @fft_rtc_fwd_len1650_factors_11_2_3_5_5_wgs_110_tpt_110_halfLds_sp_op_CI_CI_sbrr_dirReg
; %bb.0:
	s_load_dwordx4 s[16:19], s[4:5], 0x18
	s_load_dwordx4 s[12:15], s[4:5], 0x0
	;; [unrolled: 1-line block ×3, first 2 shown]
	v_mul_u32_u24_e32 v1, 0x254, v0
	v_mov_b32_e32 v5, 0
	s_waitcnt lgkmcnt(0)
	s_load_dwordx2 s[2:3], s[16:17], 0x0
	s_load_dwordx2 s[20:21], s[18:19], 0x0
	v_cmp_lt_u64_e64 s[0:1], s[14:15], 2
	v_mov_b32_e32 v49, 0
	v_add_u32_sdwa v7, s6, v1 dst_sel:DWORD dst_unused:UNUSED_PAD src0_sel:DWORD src1_sel:WORD_1
	v_mov_b32_e32 v8, v5
	s_and_b64 vcc, exec, s[0:1]
	v_mov_b32_e32 v50, 0
	s_cbranch_vccnz .LBB0_8
; %bb.1:
	s_load_dwordx2 s[0:1], s[4:5], 0x10
	s_add_u32 s6, s18, 8
	s_addc_u32 s7, s19, 0
	s_add_u32 s22, s16, 8
	s_addc_u32 s23, s17, 0
	v_mov_b32_e32 v49, 0
	s_waitcnt lgkmcnt(0)
	s_add_u32 s24, s0, 8
	v_mov_b32_e32 v50, 0
	v_mov_b32_e32 v1, v49
	s_addc_u32 s25, s1, 0
	s_mov_b64 s[26:27], 1
	v_mov_b32_e32 v2, v50
.LBB0_2:                                ; =>This Inner Loop Header: Depth=1
	s_load_dwordx2 s[28:29], s[24:25], 0x0
                                        ; implicit-def: $vgpr3_vgpr4
	s_waitcnt lgkmcnt(0)
	v_or_b32_e32 v6, s29, v8
	v_cmp_ne_u64_e32 vcc, 0, v[5:6]
	s_and_saveexec_b64 s[0:1], vcc
	s_xor_b64 s[30:31], exec, s[0:1]
	s_cbranch_execz .LBB0_4
; %bb.3:                                ;   in Loop: Header=BB0_2 Depth=1
	v_cvt_f32_u32_e32 v3, s28
	v_cvt_f32_u32_e32 v4, s29
	s_sub_u32 s0, 0, s28
	s_subb_u32 s1, 0, s29
	v_mac_f32_e32 v3, 0x4f800000, v4
	v_rcp_f32_e32 v3, v3
	v_mul_f32_e32 v3, 0x5f7ffffc, v3
	v_mul_f32_e32 v4, 0x2f800000, v3
	v_trunc_f32_e32 v4, v4
	v_mac_f32_e32 v3, 0xcf800000, v4
	v_cvt_u32_f32_e32 v4, v4
	v_cvt_u32_f32_e32 v3, v3
	v_mul_lo_u32 v6, s0, v4
	v_mul_hi_u32 v9, s0, v3
	v_mul_lo_u32 v11, s1, v3
	v_mul_lo_u32 v10, s0, v3
	v_add_u32_e32 v6, v9, v6
	v_add_u32_e32 v6, v6, v11
	v_mul_hi_u32 v9, v3, v10
	v_mul_lo_u32 v11, v3, v6
	v_mul_hi_u32 v13, v3, v6
	v_mul_hi_u32 v12, v4, v10
	v_mul_lo_u32 v10, v4, v10
	v_mul_hi_u32 v14, v4, v6
	v_add_co_u32_e32 v9, vcc, v9, v11
	v_addc_co_u32_e32 v11, vcc, 0, v13, vcc
	v_mul_lo_u32 v6, v4, v6
	v_add_co_u32_e32 v9, vcc, v9, v10
	v_addc_co_u32_e32 v9, vcc, v11, v12, vcc
	v_addc_co_u32_e32 v10, vcc, 0, v14, vcc
	v_add_co_u32_e32 v6, vcc, v9, v6
	v_addc_co_u32_e32 v9, vcc, 0, v10, vcc
	v_add_co_u32_e32 v3, vcc, v3, v6
	v_addc_co_u32_e32 v4, vcc, v4, v9, vcc
	v_mul_lo_u32 v6, s0, v4
	v_mul_hi_u32 v9, s0, v3
	v_mul_lo_u32 v10, s1, v3
	v_mul_lo_u32 v11, s0, v3
	v_add_u32_e32 v6, v9, v6
	v_add_u32_e32 v6, v6, v10
	v_mul_lo_u32 v12, v3, v6
	v_mul_hi_u32 v13, v3, v11
	v_mul_hi_u32 v14, v3, v6
	;; [unrolled: 1-line block ×3, first 2 shown]
	v_mul_lo_u32 v11, v4, v11
	v_mul_hi_u32 v9, v4, v6
	v_add_co_u32_e32 v12, vcc, v13, v12
	v_addc_co_u32_e32 v13, vcc, 0, v14, vcc
	v_mul_lo_u32 v6, v4, v6
	v_add_co_u32_e32 v11, vcc, v12, v11
	v_addc_co_u32_e32 v10, vcc, v13, v10, vcc
	v_addc_co_u32_e32 v9, vcc, 0, v9, vcc
	v_add_co_u32_e32 v6, vcc, v10, v6
	v_addc_co_u32_e32 v9, vcc, 0, v9, vcc
	v_add_co_u32_e32 v6, vcc, v3, v6
	v_addc_co_u32_e32 v9, vcc, v4, v9, vcc
	v_mad_u64_u32 v[3:4], s[0:1], v7, v9, 0
	v_mul_hi_u32 v10, v7, v6
	v_add_co_u32_e32 v11, vcc, v10, v3
	v_addc_co_u32_e32 v12, vcc, 0, v4, vcc
	v_mad_u64_u32 v[3:4], s[0:1], v8, v6, 0
	v_mad_u64_u32 v[9:10], s[0:1], v8, v9, 0
	v_add_co_u32_e32 v3, vcc, v11, v3
	v_addc_co_u32_e32 v3, vcc, v12, v4, vcc
	v_addc_co_u32_e32 v4, vcc, 0, v10, vcc
	v_add_co_u32_e32 v6, vcc, v3, v9
	v_addc_co_u32_e32 v9, vcc, 0, v4, vcc
	v_mul_lo_u32 v10, s29, v6
	v_mul_lo_u32 v11, s28, v9
	v_mad_u64_u32 v[3:4], s[0:1], s28, v6, 0
	v_add3_u32 v4, v4, v11, v10
	v_sub_u32_e32 v10, v8, v4
	v_mov_b32_e32 v11, s29
	v_sub_co_u32_e32 v3, vcc, v7, v3
	v_subb_co_u32_e64 v10, s[0:1], v10, v11, vcc
	v_subrev_co_u32_e64 v11, s[0:1], s28, v3
	v_subbrev_co_u32_e64 v10, s[0:1], 0, v10, s[0:1]
	v_cmp_le_u32_e64 s[0:1], s29, v10
	v_cndmask_b32_e64 v12, 0, -1, s[0:1]
	v_cmp_le_u32_e64 s[0:1], s28, v11
	v_cndmask_b32_e64 v11, 0, -1, s[0:1]
	v_cmp_eq_u32_e64 s[0:1], s29, v10
	v_cndmask_b32_e64 v10, v12, v11, s[0:1]
	v_add_co_u32_e64 v11, s[0:1], 2, v6
	v_addc_co_u32_e64 v12, s[0:1], 0, v9, s[0:1]
	v_add_co_u32_e64 v13, s[0:1], 1, v6
	v_addc_co_u32_e64 v14, s[0:1], 0, v9, s[0:1]
	v_subb_co_u32_e32 v4, vcc, v8, v4, vcc
	v_cmp_ne_u32_e64 s[0:1], 0, v10
	v_cmp_le_u32_e32 vcc, s29, v4
	v_cndmask_b32_e64 v10, v14, v12, s[0:1]
	v_cndmask_b32_e64 v12, 0, -1, vcc
	v_cmp_le_u32_e32 vcc, s28, v3
	v_cndmask_b32_e64 v3, 0, -1, vcc
	v_cmp_eq_u32_e32 vcc, s29, v4
	v_cndmask_b32_e32 v3, v12, v3, vcc
	v_cmp_ne_u32_e32 vcc, 0, v3
	v_cndmask_b32_e64 v3, v13, v11, s[0:1]
	v_cndmask_b32_e32 v4, v9, v10, vcc
	v_cndmask_b32_e32 v3, v6, v3, vcc
.LBB0_4:                                ;   in Loop: Header=BB0_2 Depth=1
	s_andn2_saveexec_b64 s[0:1], s[30:31]
	s_cbranch_execz .LBB0_6
; %bb.5:                                ;   in Loop: Header=BB0_2 Depth=1
	v_cvt_f32_u32_e32 v3, s28
	s_sub_i32 s30, 0, s28
	v_rcp_iflag_f32_e32 v3, v3
	v_mul_f32_e32 v3, 0x4f7ffffe, v3
	v_cvt_u32_f32_e32 v3, v3
	v_mul_lo_u32 v4, s30, v3
	v_mul_hi_u32 v4, v3, v4
	v_add_u32_e32 v3, v3, v4
	v_mul_hi_u32 v3, v7, v3
	v_mul_lo_u32 v4, v3, s28
	v_add_u32_e32 v6, 1, v3
	v_sub_u32_e32 v4, v7, v4
	v_subrev_u32_e32 v9, s28, v4
	v_cmp_le_u32_e32 vcc, s28, v4
	v_cndmask_b32_e32 v4, v4, v9, vcc
	v_cndmask_b32_e32 v3, v3, v6, vcc
	v_add_u32_e32 v6, 1, v3
	v_cmp_le_u32_e32 vcc, s28, v4
	v_cndmask_b32_e32 v3, v3, v6, vcc
	v_mov_b32_e32 v4, v5
.LBB0_6:                                ;   in Loop: Header=BB0_2 Depth=1
	s_or_b64 exec, exec, s[0:1]
	v_mul_lo_u32 v6, v4, s28
	v_mul_lo_u32 v11, v3, s29
	v_mad_u64_u32 v[9:10], s[0:1], v3, s28, 0
	s_load_dwordx2 s[0:1], s[22:23], 0x0
	s_load_dwordx2 s[28:29], s[6:7], 0x0
	v_add3_u32 v6, v10, v11, v6
	v_sub_co_u32_e32 v7, vcc, v7, v9
	v_subb_co_u32_e32 v6, vcc, v8, v6, vcc
	s_waitcnt lgkmcnt(0)
	v_mul_lo_u32 v8, s0, v6
	v_mul_lo_u32 v9, s1, v7
	v_mad_u64_u32 v[49:50], s[0:1], s0, v7, v[49:50]
	v_mul_lo_u32 v6, s28, v6
	v_mul_lo_u32 v10, s29, v7
	v_mad_u64_u32 v[1:2], s[0:1], s28, v7, v[1:2]
	s_add_u32 s26, s26, 1
	s_addc_u32 s27, s27, 0
	s_add_u32 s6, s6, 8
	v_add3_u32 v2, v10, v2, v6
	s_addc_u32 s7, s7, 0
	v_mov_b32_e32 v6, s14
	s_add_u32 s22, s22, 8
	v_mov_b32_e32 v7, s15
	s_addc_u32 s23, s23, 0
	v_cmp_ge_u64_e32 vcc, s[26:27], v[6:7]
	s_add_u32 s24, s24, 8
	v_add3_u32 v50, v9, v50, v8
	s_addc_u32 s25, s25, 0
	s_cbranch_vccnz .LBB0_9
; %bb.7:                                ;   in Loop: Header=BB0_2 Depth=1
	v_mov_b32_e32 v8, v4
	v_mov_b32_e32 v7, v3
	s_branch .LBB0_2
.LBB0_8:
	v_mov_b32_e32 v1, v49
	v_mov_b32_e32 v3, v7
	;; [unrolled: 1-line block ×4, first 2 shown]
.LBB0_9:
	s_load_dwordx2 s[0:1], s[4:5], 0x28
	s_lshl_b64 s[14:15], s[14:15], 3
	s_add_u32 s4, s18, s14
	s_addc_u32 s5, s19, s15
                                        ; implicit-def: $sgpr18
                                        ; implicit-def: $vgpr63
	s_waitcnt lgkmcnt(0)
	v_cmp_gt_u64_e32 vcc, s[0:1], v[3:4]
	v_cmp_le_u64_e64 s[0:1], s[0:1], v[3:4]
	s_and_saveexec_b64 s[6:7], s[0:1]
	s_xor_b64 s[0:1], exec, s[6:7]
; %bb.10:
	s_mov_b32 s6, 0x253c826
	v_mul_hi_u32 v5, v0, s6
	s_mov_b32 s18, 0
                                        ; implicit-def: $vgpr49_vgpr50
	v_mul_u32_u24_e32 v5, 0x6e, v5
	v_sub_u32_e32 v63, v0, v5
                                        ; implicit-def: $vgpr0
; %bb.11:
	s_or_saveexec_b64 s[6:7], s[0:1]
	s_load_dwordx2 s[4:5], s[4:5], 0x0
	v_mov_b32_e32 v6, s18
	v_mov_b32_e32 v5, s18
                                        ; implicit-def: $vgpr26
                                        ; implicit-def: $vgpr30
                                        ; implicit-def: $vgpr28
                                        ; implicit-def: $vgpr14
                                        ; implicit-def: $vgpr12
                                        ; implicit-def: $vgpr8
                                        ; implicit-def: $vgpr10
                                        ; implicit-def: $vgpr16
                                        ; implicit-def: $vgpr32
                                        ; implicit-def: $vgpr18
                                        ; implicit-def: $vgpr20
                                        ; implicit-def: $vgpr22
                                        ; implicit-def: $vgpr34
                                        ; implicit-def: $vgpr36
                                        ; implicit-def: $vgpr48
                                        ; implicit-def: $vgpr46
                                        ; implicit-def: $vgpr44
                                        ; implicit-def: $vgpr40
                                        ; implicit-def: $vgpr38
                                        ; implicit-def: $vgpr42
                                        ; implicit-def: $vgpr24
	s_xor_b64 exec, exec, s[6:7]
	s_cbranch_execz .LBB0_15
; %bb.12:
	s_add_u32 s0, s16, s14
	s_mov_b32 s14, 0x253c826
	v_mul_hi_u32 v5, v0, s14
	s_addc_u32 s1, s17, s15
	s_load_dwordx2 s[0:1], s[0:1], 0x0
                                        ; implicit-def: $vgpr43
	v_mul_u32_u24_e32 v5, 0x6e, v5
	v_sub_u32_e32 v63, v0, v5
	v_mad_u64_u32 v[5:6], s[14:15], s2, v63, 0
	s_waitcnt lgkmcnt(0)
	v_mul_lo_u32 v11, s1, v3
	v_mul_lo_u32 v12, s0, v4
	v_mad_u64_u32 v[7:8], s[0:1], s0, v3, 0
	v_mov_b32_e32 v0, v6
	v_mad_u64_u32 v[9:10], s[0:1], s3, v63, v[0:1]
	v_add3_u32 v8, v8, v12, v11
	v_lshlrev_b64 v[7:8], 3, v[7:8]
	v_mov_b32_e32 v0, s9
	v_add_co_u32_e64 v11, s[0:1], s8, v7
	v_add_u32_e32 v13, 0x96, v63
	v_mov_b32_e32 v6, v9
	v_addc_co_u32_e64 v12, s[0:1], v0, v8, s[0:1]
	v_mad_u64_u32 v[9:10], s[0:1], s2, v13, 0
	v_lshlrev_b64 v[7:8], 3, v[49:50]
	v_lshlrev_b64 v[5:6], 3, v[5:6]
	v_add_co_u32_e64 v0, s[0:1], v11, v7
	v_mov_b32_e32 v7, v10
	v_addc_co_u32_e64 v44, s[0:1], v12, v8, s[0:1]
	v_mad_u64_u32 v[7:8], s[0:1], s3, v13, v[7:8]
	v_add_u32_e32 v13, 0x12c, v63
	v_mad_u64_u32 v[11:12], s[0:1], s2, v13, 0
	v_mov_b32_e32 v10, v7
	v_add_co_u32_e64 v5, s[0:1], v0, v5
	v_lshlrev_b64 v[7:8], 3, v[9:10]
	v_mov_b32_e32 v9, v12
	v_addc_co_u32_e64 v6, s[0:1], v44, v6, s[0:1]
	v_mad_u64_u32 v[9:10], s[0:1], s3, v13, v[9:10]
	v_add_u32_e32 v10, 0x1c2, v63
	v_mad_u64_u32 v[13:14], s[0:1], s2, v10, 0
	v_add_co_u32_e64 v17, s[0:1], v0, v7
	v_mov_b32_e32 v12, v9
	v_mov_b32_e32 v9, v14
	v_addc_co_u32_e64 v18, s[0:1], v44, v8, s[0:1]
	v_lshlrev_b64 v[7:8], 3, v[11:12]
	v_mad_u64_u32 v[9:10], s[0:1], s3, v10, v[9:10]
	v_add_u32_e32 v12, 0x258, v63
	v_mad_u64_u32 v[10:11], s[0:1], s2, v12, 0
	v_add_co_u32_e64 v19, s[0:1], v0, v7
	v_mov_b32_e32 v14, v9
	v_mov_b32_e32 v9, v11
	v_addc_co_u32_e64 v20, s[0:1], v44, v8, s[0:1]
	v_lshlrev_b64 v[7:8], 3, v[13:14]
	v_mad_u64_u32 v[11:12], s[0:1], s3, v12, v[9:10]
	v_add_u32_e32 v14, 0x2ee, v63
	v_mad_u64_u32 v[12:13], s[0:1], s2, v14, 0
	v_add_co_u32_e64 v21, s[0:1], v0, v7
	v_mov_b32_e32 v9, v13
	v_addc_co_u32_e64 v22, s[0:1], v44, v8, s[0:1]
	v_lshlrev_b64 v[7:8], 3, v[10:11]
	v_mad_u64_u32 v[9:10], s[0:1], s3, v14, v[9:10]
	v_add_u32_e32 v14, 0x384, v63
	v_mad_u64_u32 v[10:11], s[0:1], s2, v14, 0
	v_add_co_u32_e64 v33, s[0:1], v0, v7
	v_mov_b32_e32 v13, v9
	v_mov_b32_e32 v9, v11
	v_addc_co_u32_e64 v34, s[0:1], v44, v8, s[0:1]
	v_lshlrev_b64 v[7:8], 3, v[12:13]
	v_mad_u64_u32 v[11:12], s[0:1], s3, v14, v[9:10]
	v_add_u32_e32 v14, 0x41a, v63
	v_mad_u64_u32 v[12:13], s[0:1], s2, v14, 0
	v_add_co_u32_e64 v35, s[0:1], v0, v7
	;; [unrolled: 15-line block ×3, first 2 shown]
	v_mov_b32_e32 v9, v13
	v_addc_co_u32_e64 v40, s[0:1], v44, v8, s[0:1]
	v_lshlrev_b64 v[7:8], 3, v[10:11]
	v_mad_u64_u32 v[9:10], s[0:1], s3, v14, v[9:10]
	v_add_u32_e32 v14, 0x5dc, v63
	v_mad_u64_u32 v[10:11], s[0:1], s2, v14, 0
	v_add_co_u32_e64 v45, s[0:1], v0, v7
	v_mov_b32_e32 v13, v9
	v_mov_b32_e32 v9, v11
	v_addc_co_u32_e64 v46, s[0:1], v44, v8, s[0:1]
	v_lshlrev_b64 v[7:8], 3, v[12:13]
	v_mad_u64_u32 v[11:12], s[0:1], s3, v14, v[9:10]
	v_add_co_u32_e64 v47, s[0:1], v0, v7
	v_addc_co_u32_e64 v48, s[0:1], v44, v8, s[0:1]
	v_lshlrev_b64 v[7:8], 3, v[10:11]
	v_add_co_u32_e64 v49, s[0:1], v0, v7
	v_addc_co_u32_e64 v50, s[0:1], v44, v8, s[0:1]
	global_load_dwordx2 v[25:26], v[5:6], off
	global_load_dwordx2 v[29:30], v[17:18], off
	;; [unrolled: 1-line block ×11, first 2 shown]
	v_cmp_gt_u32_e64 s[0:1], 40, v63
	v_mov_b32_e32 v5, 0
	v_mov_b32_e32 v6, 0
                                        ; implicit-def: $vgpr37
                                        ; implicit-def: $vgpr39
                                        ; implicit-def: $vgpr45
                                        ; implicit-def: $vgpr47
                                        ; implicit-def: $vgpr35
                                        ; implicit-def: $vgpr33
                                        ; implicit-def: $vgpr21
                                        ; implicit-def: $vgpr19
                                        ; implicit-def: $vgpr17
	s_and_saveexec_b64 s[8:9], s[0:1]
	s_cbranch_execz .LBB0_14
; %bb.13:
	v_add_u32_e32 v19, 0x6e, v63
	v_mad_u64_u32 v[5:6], s[0:1], s2, v19, 0
	v_add_u32_e32 v21, 0x104, v63
	v_mad_u64_u32 v[17:18], s[0:1], s2, v21, 0
	s_waitcnt vmcnt(5)
	v_mad_u64_u32 v[19:20], s[0:1], s3, v19, v[6:7]
	v_add_u32_e32 v43, 0x35c, v63
	v_add_u32_e32 v58, 0x5b4, v63
	v_mov_b32_e32 v6, v19
	v_mad_u64_u32 v[18:19], s[0:1], s3, v21, v[18:19]
	v_add_u32_e32 v21, 0x19a, v63
	v_mad_u64_u32 v[19:20], s[0:1], s2, v21, 0
	v_lshlrev_b64 v[5:6], 3, v[5:6]
	v_add_co_u32_e64 v33, s[0:1], v0, v5
	v_addc_co_u32_e64 v34, s[0:1], v44, v6, s[0:1]
	v_lshlrev_b64 v[5:6], 3, v[17:18]
	v_mov_b32_e32 v17, v20
	v_mad_u64_u32 v[17:18], s[0:1], s3, v21, v[17:18]
	v_add_u32_e32 v18, 0x230, v63
	v_mad_u64_u32 v[21:22], s[0:1], s2, v18, 0
	v_add_co_u32_e64 v35, s[0:1], v0, v5
	v_mov_b32_e32 v20, v17
	v_mov_b32_e32 v17, v22
	v_addc_co_u32_e64 v36, s[0:1], v44, v6, s[0:1]
	v_mad_u64_u32 v[17:18], s[0:1], s3, v18, v[17:18]
	v_lshlrev_b64 v[5:6], 3, v[19:20]
	v_add_co_u32_e64 v37, s[0:1], v0, v5
	v_mov_b32_e32 v22, v17
	v_add_u32_e32 v17, 0x2c6, v63
	v_addc_co_u32_e64 v38, s[0:1], v44, v6, s[0:1]
	v_mad_u64_u32 v[39:40], s[0:1], s2, v17, 0
	v_lshlrev_b64 v[5:6], 3, v[21:22]
	v_add_co_u32_e64 v45, s[0:1], v0, v5
	v_mov_b32_e32 v5, v40
	v_addc_co_u32_e64 v46, s[0:1], v44, v6, s[0:1]
	v_mad_u64_u32 v[47:48], s[0:1], s3, v17, v[5:6]
	v_mad_u64_u32 v[48:49], s[0:1], s2, v43, 0
	global_load_dwordx2 v[5:6], v[33:34], off
	global_load_dwordx2 v[17:18], v[35:36], off
	;; [unrolled: 1-line block ×4, first 2 shown]
	v_add_u32_e32 v38, 0x3f2, v63
	v_mov_b32_e32 v35, v49
	v_mad_u64_u32 v[35:36], s[0:1], s3, v43, v[35:36]
	v_mad_u64_u32 v[36:37], s[0:1], s2, v38, 0
	v_mov_b32_e32 v40, v47
	v_lshlrev_b64 v[33:34], 3, v[39:40]
	v_mov_b32_e32 v49, v35
	v_add_co_u32_e64 v45, s[0:1], v0, v33
	v_mov_b32_e32 v35, v37
	v_addc_co_u32_e64 v46, s[0:1], v44, v34, s[0:1]
	v_mad_u64_u32 v[37:38], s[0:1], s3, v38, v[35:36]
	v_add_u32_e32 v40, 0x488, v63
	v_mad_u64_u32 v[38:39], s[0:1], s2, v40, 0
	v_lshlrev_b64 v[33:34], 3, v[48:49]
	v_add_co_u32_e64 v47, s[0:1], v0, v33
	v_mov_b32_e32 v35, v39
	v_addc_co_u32_e64 v48, s[0:1], v44, v34, s[0:1]
	v_lshlrev_b64 v[33:34], 3, v[36:37]
	v_mad_u64_u32 v[35:36], s[0:1], s3, v40, v[35:36]
	v_add_co_u32_e64 v49, s[0:1], v0, v33
	v_mov_b32_e32 v39, v35
	v_add_u32_e32 v35, 0x51e, v63
	v_addc_co_u32_e64 v50, s[0:1], v44, v34, s[0:1]
	v_mad_u64_u32 v[51:52], s[0:1], s2, v35, 0
	v_lshlrev_b64 v[33:34], 3, v[38:39]
	v_add_co_u32_e64 v53, s[0:1], v0, v33
	v_mov_b32_e32 v33, v52
	v_addc_co_u32_e64 v54, s[0:1], v44, v34, s[0:1]
	v_mad_u64_u32 v[55:56], s[0:1], s3, v35, v[33:34]
	v_mad_u64_u32 v[56:57], s[0:1], s2, v58, 0
	v_mov_b32_e32 v52, v55
	global_load_dwordx2 v[33:34], v[45:46], off
	global_load_dwordx2 v[35:36], v[47:48], off
	;; [unrolled: 1-line block ×4, first 2 shown]
	v_mov_b32_e32 v43, v57
	v_lshlrev_b64 v[45:46], 3, v[51:52]
	v_mad_u64_u32 v[47:48], s[0:1], s3, v58, v[43:44]
	v_add_u32_e32 v52, 0x64a, v63
	v_mad_u64_u32 v[48:49], s[0:1], s2, v52, 0
	v_add_co_u32_e64 v50, s[0:1], v0, v45
	v_mov_b32_e32 v43, v49
	v_addc_co_u32_e64 v51, s[0:1], v44, v46, s[0:1]
	v_mad_u64_u32 v[52:53], s[0:1], s3, v52, v[43:44]
	v_mov_b32_e32 v57, v47
	v_lshlrev_b64 v[45:46], 3, v[56:57]
	v_mov_b32_e32 v49, v52
	v_add_co_u32_e64 v53, s[0:1], v0, v45
	v_addc_co_u32_e64 v54, s[0:1], v44, v46, s[0:1]
	v_lshlrev_b64 v[45:46], 3, v[48:49]
	v_add_co_u32_e64 v55, s[0:1], v0, v45
	v_addc_co_u32_e64 v56, s[0:1], v44, v46, s[0:1]
	global_load_dwordx2 v[43:44], v[50:51], off
	global_load_dwordx2 v[45:46], v[53:54], off
	;; [unrolled: 1-line block ×3, first 2 shown]
.LBB0_14:
	s_or_b64 exec, exec, s[8:9]
.LBB0_15:
	s_or_b64 exec, exec, s[6:7]
	s_waitcnt vmcnt(9)
	v_add_f32_e32 v0, v25, v29
	s_waitcnt vmcnt(8)
	v_add_f32_e32 v0, v0, v27
	;; [unrolled: 2-line block ×10, first 2 shown]
	v_add_f32_e32 v0, v29, v31
	v_mul_f32_e32 v51, 0x3f575c64, v0
	v_mul_f32_e32 v53, 0x3ed4b147, v0
	;; [unrolled: 1-line block ×5, first 2 shown]
	v_sub_f32_e32 v49, v30, v32
	v_mov_b32_e32 v52, v51
	v_mov_b32_e32 v54, v53
	;; [unrolled: 1-line block ×5, first 2 shown]
	v_fmac_f32_e32 v52, 0x3f0a6770, v49
	v_fmac_f32_e32 v51, 0xbf0a6770, v49
	;; [unrolled: 1-line block ×10, first 2 shown]
	v_add_f32_e32 v52, v52, v25
	v_add_f32_e32 v51, v51, v25
	;; [unrolled: 1-line block ×11, first 2 shown]
	v_sub_f32_e32 v49, v28, v42
	v_mul_f32_e32 v60, 0x3ed4b147, v25
	v_mov_b32_e32 v61, v60
	v_fmac_f32_e32 v60, 0xbf68dda4, v49
	v_fmac_f32_e32 v61, 0x3f68dda4, v49
	v_add_f32_e32 v51, v51, v60
	v_mul_f32_e32 v60, 0xbf27a4f4, v25
	v_add_f32_e32 v52, v52, v61
	v_mov_b32_e32 v61, v60
	v_fmac_f32_e32 v60, 0xbf4178ce, v49
	v_fmac_f32_e32 v61, 0x3f4178ce, v49
	v_add_f32_e32 v53, v53, v60
	v_mul_f32_e32 v60, 0xbf75a155, v25
	v_add_f32_e32 v54, v54, v61
	v_mov_b32_e32 v61, v60
	v_fmac_f32_e32 v60, 0x3e903f40, v49
	v_fmac_f32_e32 v61, 0xbe903f40, v49
	v_add_f32_e32 v55, v55, v60
	v_mul_f32_e32 v60, 0xbe11bafb, v25
	v_add_f32_e32 v56, v56, v61
	v_mov_b32_e32 v61, v60
	v_fmac_f32_e32 v60, 0x3f7d64f0, v49
	v_mul_f32_e32 v25, 0x3f575c64, v25
	v_add_f32_e32 v57, v57, v60
	v_mov_b32_e32 v60, v25
	v_fmac_f32_e32 v25, 0x3f0a6770, v49
	v_fmac_f32_e32 v60, 0xbf0a6770, v49
	v_add_f32_e32 v0, v0, v25
	v_add_f32_e32 v25, v13, v15
	v_fmac_f32_e32 v61, 0xbf7d64f0, v49
	v_add_f32_e32 v59, v59, v60
	v_sub_f32_e32 v49, v14, v16
	v_mul_f32_e32 v60, 0xbe11bafb, v25
	v_add_f32_e32 v58, v58, v61
	v_mov_b32_e32 v61, v60
	v_fmac_f32_e32 v60, 0xbf7d64f0, v49
	v_fmac_f32_e32 v61, 0x3f7d64f0, v49
	v_add_f32_e32 v51, v60, v51
	v_mul_f32_e32 v60, 0xbf75a155, v25
	v_add_f32_e32 v52, v61, v52
	v_mov_b32_e32 v61, v60
	v_fmac_f32_e32 v60, 0x3e903f40, v49
	v_fmac_f32_e32 v61, 0xbe903f40, v49
	v_add_f32_e32 v53, v60, v53
	v_mul_f32_e32 v60, 0x3ed4b147, v25
	v_add_f32_e32 v54, v61, v54
	v_mov_b32_e32 v61, v60
	v_fmac_f32_e32 v60, 0x3f68dda4, v49
	v_fmac_f32_e32 v61, 0xbf68dda4, v49
	v_add_f32_e32 v55, v60, v55
	v_mul_f32_e32 v60, 0x3f575c64, v25
	v_add_f32_e32 v56, v61, v56
	v_mov_b32_e32 v61, v60
	v_fmac_f32_e32 v60, 0xbf0a6770, v49
	v_mul_f32_e32 v25, 0xbf27a4f4, v25
	v_add_f32_e32 v57, v60, v57
	v_mov_b32_e32 v60, v25
	v_fmac_f32_e32 v25, 0xbf4178ce, v49
	v_fmac_f32_e32 v60, 0x3f4178ce, v49
	v_add_f32_e32 v0, v25, v0
	v_add_f32_e32 v25, v23, v11
	v_fmac_f32_e32 v61, 0x3f0a6770, v49
	v_add_f32_e32 v59, v60, v59
	v_sub_f32_e32 v49, v12, v24
	v_mul_f32_e32 v60, 0xbf27a4f4, v25
	v_add_f32_e32 v58, v61, v58
	;; [unrolled: 32-line block ×3, first 2 shown]
	v_mov_b32_e32 v61, v60
	v_fmac_f32_e32 v60, 0xbe903f40, v49
	v_fmac_f32_e32 v61, 0x3e903f40, v49
	v_add_f32_e32 v71, v60, v51
	v_mul_f32_e32 v51, 0x3f575c64, v25
	v_add_f32_e32 v61, v61, v52
	v_mov_b32_e32 v52, v51
	v_fmac_f32_e32 v51, 0x3f0a6770, v49
	v_fmac_f32_e32 v52, 0xbf0a6770, v49
	v_add_f32_e32 v53, v51, v53
	v_mul_f32_e32 v51, 0xbf27a4f4, v25
	v_add_f32_e32 v54, v52, v54
	;; [unrolled: 6-line block ×3, first 2 shown]
	v_mov_b32_e32 v52, v51
	v_fmac_f32_e32 v52, 0xbf68dda4, v49
	v_mul_f32_e32 v25, 0xbe11bafb, v25
	v_add_f32_e32 v58, v52, v58
	v_mov_b32_e32 v52, v25
	v_fmac_f32_e32 v51, 0x3f68dda4, v49
	v_fmac_f32_e32 v52, 0x3f7d64f0, v49
	;; [unrolled: 1-line block ×3, first 2 shown]
	v_sub_f32_e32 v49, v18, v48
	s_mov_b32 s7, 0xbe11bafb
	v_add_f32_e32 v51, v51, v57
	v_add_f32_e32 v57, v52, v59
	;; [unrolled: 1-line block ×4, first 2 shown]
	v_mul_f32_e32 v52, 0xbf7d64f0, v49
	v_mad_u32_u24 v25, v63, 44, 0
	ds_write2_b32 v25, v50, v61 offset1:1
	v_fma_f32 v50, v0, s7, -v52
	ds_write2_b32 v25, v54, v56 offset0:2 offset1:3
	v_sub_f32_e32 v54, v20, v46
	s_mov_b32 s9, 0xbf75a155
	v_add_f32_e32 v61, v5, v50
	v_add_f32_e32 v50, v19, v45
	v_mul_f32_e32 v59, 0x3e903f40, v54
	s_mov_b32 s8, 0xbf27a4f4
	v_mul_f32_e32 v60, 0xbf4178ce, v49
	v_fma_f32 v56, v50, s9, -v59
	ds_write2_b32 v25, v58, v57 offset0:4 offset1:5
	v_add_f32_e32 v57, v61, v56
	v_fma_f32 v56, v0, s8, -v60
	ds_write2_b32 v25, v62, v51 offset0:6 offset1:7
	v_mul_f32_e32 v62, 0x3f7d64f0, v54
	v_add_f32_e32 v56, v5, v56
	v_fma_f32 v51, v50, s7, -v62
	v_add_f32_e32 v58, v56, v51
	v_sub_f32_e32 v56, v22, v44
	s_mov_b32 s6, 0x3ed4b147
	v_add_f32_e32 v51, v21, v43
	v_mul_f32_e32 v61, 0x3f68dda4, v56
	ds_write2_b32 v25, v55, v53 offset0:8 offset1:9
	v_fma_f32 v53, v51, s6, -v61
	s_mov_b32 s14, 0x3f575c64
	v_mul_f32_e32 v68, 0xbf0a6770, v56
	v_add_f32_e32 v55, v57, v53
	v_fma_f32 v53, v51, s14, -v68
	v_sub_f32_e32 v57, v34, v40
	v_add_f32_e32 v58, v58, v53
	v_add_f32_e32 v53, v33, v39
	v_mul_f32_e32 v66, 0xbf0a6770, v57
	v_fma_f32 v64, v53, s14, -v66
	v_mul_f32_e32 v69, 0xbe903f40, v57
	v_add_f32_e32 v64, v55, v64
	v_fma_f32 v55, v53, s9, -v69
	v_add_f32_e32 v72, v58, v55
	v_sub_f32_e32 v58, v36, v38
	v_add_f32_e32 v55, v35, v37
	v_mul_f32_e32 v67, 0xbf4178ce, v58
	v_fma_f32 v65, v55, s8, -v67
	v_mul_f32_e32 v70, 0x3f68dda4, v58
	v_add_f32_e32 v65, v64, v65
	v_fma_f32 v64, v55, s6, -v70
	v_add_f32_e32 v64, v72, v64
	v_cmp_gt_u32_e64 s[2:3], 40, v63
	ds_write_b32 v25, v71 offset:40
	s_and_saveexec_b64 s[0:1], s[2:3]
	s_cbranch_execz .LBB0_17
; %bb.16:
	v_mul_f32_e32 v71, 0xbe11bafb, v0
	v_mul_f32_e32 v72, 0xbf27a4f4, v0
	;; [unrolled: 1-line block ×3, first 2 shown]
	v_add_f32_e32 v52, v52, v71
	v_mul_f32_e32 v74, 0xbe11bafb, v50
	v_mul_f32_e32 v75, 0x3ed4b147, v51
	v_add_f32_e32 v60, v60, v72
	v_add_f32_e32 v52, v5, v52
	;; [unrolled: 1-line block ×3, first 2 shown]
	v_mul_f32_e32 v76, 0x3f575c64, v51
	v_mul_f32_e32 v77, 0x3f575c64, v53
	v_add_f32_e32 v60, v5, v60
	v_add_f32_e32 v62, v62, v74
	v_add_f32_e32 v52, v52, v59
	v_add_f32_e32 v59, v61, v75
	v_mul_f32_e32 v78, 0xbf75a155, v53
	v_mul_f32_e32 v79, 0xbf27a4f4, v55
	v_add_f32_e32 v60, v60, v62
	v_add_f32_e32 v62, v68, v76
	;; [unrolled: 1-line block ×4, first 2 shown]
	v_mul_f32_e32 v80, 0x3ed4b147, v55
	v_add_f32_e32 v60, v60, v62
	v_add_f32_e32 v62, v69, v78
	v_add_f32_e32 v52, v52, v59
	v_add_f32_e32 v59, v67, v79
	v_add_f32_e32 v60, v60, v62
	v_add_f32_e32 v62, v70, v80
	v_add_f32_e32 v52, v52, v59
	v_mul_f32_e32 v59, 0xbf68dda4, v49
	v_add_f32_e32 v60, v60, v62
	v_mov_b32_e32 v61, v59
	v_mul_f32_e32 v62, 0xbf4178ce, v54
	v_fmac_f32_e32 v61, 0x3ed4b147, v0
	v_mov_b32_e32 v66, v62
	v_add_f32_e32 v61, v5, v61
	v_fmac_f32_e32 v66, 0xbf27a4f4, v50
	v_fma_f32 v59, v0, s6, -v59
	v_add_f32_e32 v61, v61, v66
	v_mul_f32_e32 v66, 0x3e903f40, v56
	v_add_f32_e32 v59, v5, v59
	v_fma_f32 v62, v50, s8, -v62
	v_mul_f32_e32 v81, 0xbe903f40, v49
	v_add_f32_e32 v59, v59, v62
	v_fma_f32 v62, v51, s9, -v66
	v_mul_f32_e32 v49, 0xbf0a6770, v49
	v_mov_b32_e32 v82, v81
	v_add_f32_e32 v59, v59, v62
	v_mov_b32_e32 v62, v49
	v_fmac_f32_e32 v82, 0xbf75a155, v0
	v_mul_f32_e32 v83, 0x3f0a6770, v54
	v_fma_f32 v81, v0, s9, -v81
	v_fmac_f32_e32 v62, 0x3f575c64, v0
	v_fma_f32 v0, v0, s14, -v49
	v_add_f32_e32 v82, v5, v82
	v_mov_b32_e32 v84, v83
	v_add_f32_e32 v81, v5, v81
	v_add_f32_e32 v62, v5, v62
	;; [unrolled: 1-line block ×4, first 2 shown]
	v_fmac_f32_e32 v84, 0x3f575c64, v50
	v_add_f32_e32 v5, v5, v19
	v_add_f32_e32 v82, v82, v84
	v_mul_f32_e32 v84, 0xbf4178ce, v56
	v_add_f32_e32 v5, v5, v21
	v_mov_b32_e32 v85, v84
	v_mov_b32_e32 v67, v66
	v_add_f32_e32 v5, v5, v33
	v_fmac_f32_e32 v85, 0xbf27a4f4, v51
	v_fmac_f32_e32 v67, 0xbf75a155, v51
	v_mul_f32_e32 v54, 0xbf68dda4, v54
	v_add_f32_e32 v5, v5, v35
	v_add_f32_e32 v82, v82, v85
	v_mul_f32_e32 v85, 0x3f68dda4, v57
	v_add_f32_e32 v61, v61, v67
	v_mul_f32_e32 v67, 0x3f7d64f0, v57
	v_mul_f32_e32 v56, 0xbf7d64f0, v56
	v_fma_f32 v49, v50, s6, -v54
	v_add_f32_e32 v5, v5, v37
	v_fma_f32 v86, v53, s6, -v85
	v_fmac_f32_e32 v85, 0x3ed4b147, v53
	v_fma_f32 v68, v53, s7, -v67
	v_fmac_f32_e32 v67, 0xbe11bafb, v53
	v_mov_b32_e32 v66, v54
	v_mul_f32_e32 v57, 0xbf4178ce, v57
	v_add_f32_e32 v0, v0, v49
	v_fma_f32 v49, v51, s7, -v56
	v_add_f32_e32 v5, v39, v5
	v_add_f32_e32 v82, v82, v85
	v_mul_f32_e32 v85, 0xbf7d64f0, v58
	v_fma_f32 v83, v50, s14, -v83
	v_add_f32_e32 v61, v61, v67
	v_mul_f32_e32 v67, 0x3f0a6770, v58
	v_fmac_f32_e32 v66, 0x3ed4b147, v50
	v_mul_f32_e32 v58, 0xbe903f40, v58
	v_add_f32_e32 v0, v0, v49
	v_fma_f32 v49, v53, s8, -v57
	v_add_f32_e32 v5, v43, v5
	v_add_f32_e32 v81, v81, v83
	v_fma_f32 v83, v51, s8, -v84
	v_add_f32_e32 v62, v62, v66
	v_mov_b32_e32 v66, v56
	v_add_f32_e32 v0, v0, v49
	v_fma_f32 v49, v55, s9, -v58
	v_add_f32_e32 v5, v45, v5
	v_add_f32_e32 v81, v81, v83
	v_fma_f32 v69, v55, s14, -v67
	v_add_f32_e32 v59, v59, v68
	v_fmac_f32_e32 v66, 0xbe11bafb, v51
	v_add_f32_e32 v0, v0, v49
	v_add_f32_e32 v5, v47, v5
	v_add_u32_e32 v49, 0x12e8, v25
	v_fma_f32 v87, v55, s7, -v85
	v_add_f32_e32 v81, v81, v86
	v_add_f32_e32 v59, v59, v69
	;; [unrolled: 1-line block ×3, first 2 shown]
	v_mov_b32_e32 v66, v57
	ds_write2_b32 v49, v5, v0 offset1:1
	v_add_u32_e32 v0, 0x12f0, v25
	v_fmac_f32_e32 v85, 0xbe11bafb, v55
	v_add_f32_e32 v81, v81, v87
	v_fmac_f32_e32 v66, 0xbf27a4f4, v53
	ds_write2_b32 v0, v59, v65 offset1:1
	v_add_u32_e32 v0, 0x12f8, v25
	v_add_f32_e32 v82, v82, v85
	v_fmac_f32_e32 v67, 0x3f575c64, v55
	v_add_f32_e32 v62, v62, v66
	v_mov_b32_e32 v66, v58
	ds_write2_b32 v0, v64, v81 offset1:1
	v_add_u32_e32 v0, 0x1300, v25
	v_add_f32_e32 v61, v61, v67
	v_fmac_f32_e32 v66, 0xbf75a155, v55
	ds_write2_b32 v0, v82, v60 offset1:1
	v_add_u32_e32 v0, 0x1308, v25
	v_add_f32_e32 v62, v62, v66
	ds_write2_b32 v0, v52, v61 offset1:1
	ds_write_b32 v25, v62 offset:4880
.LBB0_17:
	s_or_b64 exec, exec, s[0:1]
	s_movk_i32 s0, 0xffd8
	v_mad_i32_i24 v0, v63, s0, v25
	v_add_u32_e32 v5, 0xa00, v0
	s_waitcnt lgkmcnt(0)
	s_barrier
	ds_read2_b32 v[55:56], v5 offset0:20 offset1:185
	v_add_u32_e32 v5, 0xe00, v0
	ds_read2_b32 v[53:54], v5 offset0:39 offset1:149
	v_add_u32_e32 v5, 0x200, v0
	;; [unrolled: 2-line block ×5, first 2 shown]
	ds_read2_b32 v[57:58], v0 offset1:110
	ds_read2_b32 v[49:50], v5 offset0:95 offset1:205
	v_cmp_gt_u32_e64 s[0:1], 55, v63
	s_and_saveexec_b64 s[6:7], s[0:1]
	s_cbranch_execz .LBB0_19
; %bb.18:
	ds_read_b32 v65, v0 offset:3080
	ds_read_b32 v64, v0 offset:6380
.LBB0_19:
	s_or_b64 exec, exec, s[6:7]
	v_add_f32_e32 v5, v26, v30
	v_add_f32_e32 v5, v5, v28
	;; [unrolled: 1-line block ×9, first 2 shown]
	v_sub_f32_e32 v29, v29, v31
	v_add_f32_e32 v66, v5, v32
	v_add_f32_e32 v5, v30, v32
	v_mul_f32_e32 v30, 0xbf0a6770, v29
	v_mul_f32_e32 v32, 0xbf68dda4, v29
	;; [unrolled: 1-line block ×5, first 2 shown]
	s_mov_b32 s8, 0x3f575c64
	v_mov_b32_e32 v31, v30
	s_mov_b32 s14, 0x3ed4b147
	v_mov_b32_e32 v67, v32
	s_mov_b32 s9, 0xbe11bafb
	v_mov_b32_e32 v69, v68
	s_mov_b32 s16, 0xbf27a4f4
	v_mov_b32_e32 v71, v70
	s_mov_b32 s15, 0xbf75a155
	v_mov_b32_e32 v72, v29
	v_fmac_f32_e32 v31, 0x3f575c64, v5
	v_fma_f32 v30, v5, s8, -v30
	v_fmac_f32_e32 v67, 0x3ed4b147, v5
	v_fma_f32 v32, v5, s14, -v32
	;; [unrolled: 2-line block ×5, first 2 shown]
	v_sub_f32_e32 v27, v27, v41
	v_add_f32_e32 v31, v31, v26
	v_add_f32_e32 v30, v30, v26
	;; [unrolled: 1-line block ×11, first 2 shown]
	v_mul_f32_e32 v28, 0xbf68dda4, v27
	v_mov_b32_e32 v29, v28
	v_fma_f32 v28, v26, s14, -v28
	v_fmac_f32_e32 v29, 0x3ed4b147, v26
	v_add_f32_e32 v28, v30, v28
	v_mul_f32_e32 v30, 0xbf4178ce, v27
	v_add_f32_e32 v29, v31, v29
	v_mov_b32_e32 v31, v30
	v_fma_f32 v30, v26, s16, -v30
	v_add_f32_e32 v30, v32, v30
	v_mul_f32_e32 v32, 0x3e903f40, v27
	v_fmac_f32_e32 v31, 0xbf27a4f4, v26
	v_mov_b32_e32 v41, v32
	v_fma_f32 v32, v26, s15, -v32
	v_mul_f32_e32 v42, 0x3f7d64f0, v27
	v_mul_f32_e32 v27, 0x3f0a6770, v27
	v_add_f32_e32 v31, v67, v31
	v_add_f32_e32 v32, v68, v32
	v_mov_b32_e32 v67, v42
	v_mov_b32_e32 v68, v27
	v_sub_f32_e32 v13, v13, v15
	v_fmac_f32_e32 v41, 0xbf75a155, v26
	v_fmac_f32_e32 v67, 0xbe11bafb, v26
	v_fma_f32 v42, v26, s9, -v42
	v_fmac_f32_e32 v68, 0x3f575c64, v26
	v_fma_f32 v26, v26, s8, -v27
	v_add_f32_e32 v14, v14, v16
	v_mul_f32_e32 v15, 0xbf7d64f0, v13
	v_add_f32_e32 v5, v5, v26
	v_mov_b32_e32 v16, v15
	v_fma_f32 v15, v14, s9, -v15
	v_mul_f32_e32 v26, 0x3e903f40, v13
	v_fmac_f32_e32 v16, 0xbe11bafb, v14
	v_add_f32_e32 v15, v15, v28
	v_mov_b32_e32 v27, v26
	v_fma_f32 v26, v14, s15, -v26
	v_mul_f32_e32 v28, 0x3f68dda4, v13
	v_add_f32_e32 v16, v16, v29
	v_add_f32_e32 v26, v26, v30
	v_mov_b32_e32 v29, v28
	v_fma_f32 v28, v14, s14, -v28
	v_mul_f32_e32 v30, 0xbf0a6770, v13
	v_mul_f32_e32 v13, 0xbf4178ce, v13
	v_fmac_f32_e32 v27, 0xbf75a155, v14
	v_add_f32_e32 v28, v28, v32
	v_mov_b32_e32 v32, v13
	v_fma_f32 v13, v14, s16, -v13
	v_sub_f32_e32 v11, v11, v23
	v_add_f32_e32 v27, v27, v31
	v_mov_b32_e32 v31, v30
	v_add_f32_e32 v5, v13, v5
	v_add_f32_e32 v12, v24, v12
	v_mul_f32_e32 v13, 0xbf4178ce, v11
	v_fmac_f32_e32 v29, 0x3ed4b147, v14
	v_fmac_f32_e32 v31, 0x3f575c64, v14
	v_fma_f32 v30, v14, s8, -v30
	v_fmac_f32_e32 v32, 0xbf27a4f4, v14
	v_mov_b32_e32 v14, v13
	v_fma_f32 v13, v12, s16, -v13
	v_fmac_f32_e32 v14, 0xbf27a4f4, v12
	v_add_f32_e32 v13, v15, v13
	v_mul_f32_e32 v15, 0x3f7d64f0, v11
	v_add_f32_e32 v14, v16, v14
	v_mov_b32_e32 v16, v15
	v_fma_f32 v15, v12, s9, -v15
	v_mul_f32_e32 v23, 0xbf0a6770, v11
	v_add_f32_e32 v15, v26, v15
	v_mov_b32_e32 v24, v23
	v_fma_f32 v23, v12, s8, -v23
	v_mul_f32_e32 v26, 0xbe903f40, v11
	v_mul_f32_e32 v11, 0x3f68dda4, v11
	v_sub_f32_e32 v7, v7, v9
	v_add_f32_e32 v68, v72, v68
	v_fmac_f32_e32 v16, 0xbe11bafb, v12
	v_add_f32_e32 v23, v28, v23
	v_mov_b32_e32 v28, v11
	v_add_f32_e32 v8, v8, v10
	v_mul_f32_e32 v9, 0xbe903f40, v7
	v_add_f32_e32 v67, v71, v67
	v_add_f32_e32 v32, v32, v68
	;; [unrolled: 1-line block ×3, first 2 shown]
	v_mov_b32_e32 v27, v26
	v_fmac_f32_e32 v28, 0x3ed4b147, v12
	v_mov_b32_e32 v10, v9
	v_fma_f32 v9, v8, s15, -v9
	v_add_f32_e32 v31, v31, v67
	v_fmac_f32_e32 v27, 0xbf75a155, v12
	v_add_f32_e32 v28, v32, v28
	v_fmac_f32_e32 v10, 0xbf75a155, v8
	v_add_f32_e32 v32, v9, v13
	v_mul_f32_e32 v9, 0x3f0a6770, v7
	v_add_f32_e32 v42, v70, v42
	v_add_f32_e32 v27, v31, v27
	;; [unrolled: 1-line block ×3, first 2 shown]
	v_mov_b32_e32 v10, v9
	v_fma_f32 v9, v8, s8, -v9
	v_add_f32_e32 v41, v69, v41
	v_add_f32_e32 v30, v30, v42
	v_fmac_f32_e32 v10, 0x3f575c64, v8
	v_add_f32_e32 v42, v9, v15
	v_mul_f32_e32 v9, 0xbf4178ce, v7
	v_add_f32_e32 v29, v29, v41
	v_fmac_f32_e32 v24, 0x3f575c64, v12
	v_add_f32_e32 v41, v10, v16
	v_mov_b32_e32 v10, v9
	v_fma_f32 v9, v8, s16, -v9
	v_add_f32_e32 v24, v29, v24
	v_fma_f32 v26, v12, s15, -v26
	v_fmac_f32_e32 v10, 0xbf27a4f4, v8
	v_add_f32_e32 v68, v9, v23
	v_mul_f32_e32 v9, 0x3f68dda4, v7
	v_add_f32_e32 v26, v30, v26
	v_add_f32_e32 v67, v10, v24
	v_mov_b32_e32 v10, v9
	v_fma_f32 v9, v8, s14, -v9
	v_mul_f32_e32 v7, 0xbf7d64f0, v7
	v_add_f32_e32 v70, v9, v26
	v_mov_b32_e32 v9, v7
	v_fmac_f32_e32 v9, 0xbe11bafb, v8
	v_fma_f32 v11, v12, s14, -v11
	v_add_f32_e32 v71, v9, v28
	v_sub_f32_e32 v28, v17, v47
	v_add_f32_e32 v5, v5, v11
	v_fma_f32 v7, v8, s9, -v7
	v_mul_f32_e32 v29, 0xbf7d64f0, v28
	v_sub_f32_e32 v23, v19, v45
	v_add_f32_e32 v72, v7, v5
	v_add_f32_e32 v26, v18, v48
	v_mov_b32_e32 v5, v29
	v_mul_f32_e32 v24, 0x3e903f40, v23
	v_fmac_f32_e32 v10, 0x3ed4b147, v8
	v_fmac_f32_e32 v5, 0xbe11bafb, v26
	v_mul_f32_e32 v30, 0xbf4178ce, v28
	v_add_f32_e32 v17, v20, v46
	v_mov_b32_e32 v8, v24
	v_add_f32_e32 v69, v10, v27
	v_add_f32_e32 v5, v6, v5
	v_mov_b32_e32 v7, v30
	v_fmac_f32_e32 v8, 0xbf75a155, v17
	v_mul_f32_e32 v27, 0x3f7d64f0, v23
	v_fmac_f32_e32 v7, 0xbf27a4f4, v26
	v_add_f32_e32 v5, v5, v8
	v_mov_b32_e32 v8, v27
	v_sub_f32_e32 v15, v21, v43
	v_add_f32_e32 v7, v6, v7
	v_fmac_f32_e32 v8, 0xbe11bafb, v17
	v_mul_f32_e32 v16, 0x3f68dda4, v15
	v_add_f32_e32 v7, v7, v8
	v_add_f32_e32 v13, v22, v44
	v_mov_b32_e32 v8, v16
	v_fmac_f32_e32 v8, 0x3ed4b147, v13
	v_mul_f32_e32 v19, 0xbf0a6770, v15
	v_add_f32_e32 v5, v5, v8
	v_mov_b32_e32 v8, v19
	v_sub_f32_e32 v11, v33, v39
	v_fmac_f32_e32 v8, 0x3f575c64, v13
	v_mul_f32_e32 v12, 0xbf0a6770, v11
	v_add_f32_e32 v7, v7, v8
	v_add_f32_e32 v9, v34, v40
	v_mov_b32_e32 v8, v12
	v_fmac_f32_e32 v8, 0x3f575c64, v9
	v_mul_f32_e32 v14, 0xbe903f40, v11
	v_add_f32_e32 v10, v5, v8
	v_mov_b32_e32 v5, v14
	v_fmac_f32_e32 v5, 0xbf75a155, v9
	v_add_f32_e32 v21, v7, v5
	v_sub_f32_e32 v7, v35, v37
	v_mul_f32_e32 v8, 0xbf4178ce, v7
	v_add_f32_e32 v5, v36, v38
	v_mov_b32_e32 v33, v8
	v_fmac_f32_e32 v33, 0xbf27a4f4, v5
	v_add_f32_e32 v37, v10, v33
	v_mul_f32_e32 v10, 0x3f68dda4, v7
	v_mov_b32_e32 v33, v10
	v_fmac_f32_e32 v33, 0x3ed4b147, v5
	v_add_f32_e32 v39, v21, v33
	v_add_u32_e32 v35, 0x6e, v63
	s_waitcnt lgkmcnt(0)
	s_barrier
	ds_write2_b32 v25, v66, v31 offset1:1
	ds_write2_b32 v25, v41, v67 offset0:2 offset1:3
	ds_write2_b32 v25, v69, v71 offset0:4 offset1:5
	;; [unrolled: 1-line block ×4, first 2 shown]
	ds_write_b32 v25, v32 offset:40
	s_and_saveexec_b64 s[6:7], s[2:3]
	s_cbranch_execz .LBB0_21
; %bb.20:
	v_add_f32_e32 v18, v6, v18
	v_add_f32_e32 v18, v18, v20
	;; [unrolled: 1-line block ×3, first 2 shown]
	v_mul_f32_e32 v21, 0xbe11bafb, v26
	v_add_f32_e32 v18, v18, v34
	v_mul_f32_e32 v20, 0xbf0a6770, v28
	v_mul_f32_e32 v34, 0xbf68dda4, v28
	;; [unrolled: 1-line block ×4, first 2 shown]
	v_sub_f32_e32 v21, v21, v29
	v_mov_b32_e32 v29, v28
	v_add_f32_e32 v18, v18, v36
	v_fma_f32 v22, v26, s8, -v20
	v_fmac_f32_e32 v20, 0x3f575c64, v26
	v_fma_f32 v36, v26, s14, -v34
	v_fmac_f32_e32 v34, 0x3ed4b147, v26
	v_sub_f32_e32 v25, v25, v30
	v_fmac_f32_e32 v29, 0xbf75a155, v26
	v_fma_f32 v26, v26, s15, -v28
	v_mul_f32_e32 v31, 0xbf75a155, v17
	v_add_f32_e32 v20, v6, v20
	v_add_f32_e32 v22, v6, v22
	;; [unrolled: 1-line block ×8, first 2 shown]
	v_mul_f32_e32 v26, 0xbf68dda4, v23
	v_mul_f32_e32 v32, 0xbe11bafb, v17
	v_fma_f32 v28, v17, s14, -v26
	v_fmac_f32_e32 v26, 0x3ed4b147, v17
	v_sub_f32_e32 v24, v31, v24
	v_add_f32_e32 v20, v20, v26
	v_mul_f32_e32 v26, 0xbf4178ce, v23
	v_add_f32_e32 v21, v21, v24
	v_sub_f32_e32 v24, v32, v27
	v_mul_f32_e32 v23, 0x3f0a6770, v23
	v_add_f32_e32 v24, v25, v24
	v_mov_b32_e32 v25, v23
	v_add_f32_e32 v22, v22, v28
	v_fma_f32 v28, v17, s16, -v26
	v_fmac_f32_e32 v26, 0xbf27a4f4, v17
	v_fmac_f32_e32 v25, 0x3f575c64, v17
	v_fma_f32 v17, v17, s8, -v23
	v_add_f32_e32 v6, v6, v17
	v_mul_f32_e32 v17, 0xbf7d64f0, v15
	v_mul_f32_e32 v33, 0x3ed4b147, v13
	v_fma_f32 v23, v13, s9, -v17
	v_fmac_f32_e32 v17, 0xbe11bafb, v13
	v_add_f32_e32 v17, v20, v17
	v_add_f32_e32 v20, v22, v23
	v_mul_f32_e32 v22, 0x3e903f40, v15
	v_sub_f32_e32 v16, v33, v16
	v_mul_f32_e32 v15, 0xbf4178ce, v15
	v_add_f32_e32 v16, v21, v16
	v_mov_b32_e32 v21, v15
	v_mul_f32_e32 v41, 0x3f575c64, v13
	v_fma_f32 v23, v13, s15, -v22
	v_fmac_f32_e32 v22, 0xbf75a155, v13
	v_fmac_f32_e32 v21, 0xbf27a4f4, v13
	v_fma_f32 v13, v13, s16, -v15
	v_add_f32_e32 v6, v6, v13
	v_mul_f32_e32 v13, 0xbf4178ce, v11
	v_mul_f32_e32 v42, 0x3f575c64, v9
	v_fma_f32 v15, v9, s16, -v13
	v_fmac_f32_e32 v13, 0xbf27a4f4, v9
	v_add_f32_e32 v13, v17, v13
	v_mul_f32_e32 v17, 0x3f7d64f0, v11
	v_sub_f32_e32 v12, v42, v12
	v_mul_f32_e32 v11, 0x3f68dda4, v11
	v_add_f32_e32 v12, v16, v12
	v_mov_b32_e32 v16, v11
	v_mul_f32_e32 v43, 0xbf75a155, v9
	v_add_f32_e32 v15, v20, v15
	v_fma_f32 v20, v9, s9, -v17
	v_fmac_f32_e32 v17, 0xbe11bafb, v9
	v_fmac_f32_e32 v16, 0x3ed4b147, v9
	v_fma_f32 v9, v9, s14, -v11
	v_add_f32_e32 v6, v6, v9
	v_mul_f32_e32 v9, 0xbe903f40, v7
	v_mul_f32_e32 v45, 0xbf27a4f4, v5
	v_add_f32_e32 v18, v18, v38
	v_fma_f32 v11, v5, s15, -v9
	v_fmac_f32_e32 v9, 0xbf75a155, v5
	v_add_f32_e32 v18, v40, v18
	v_add_f32_e32 v9, v13, v9
	v_mul_f32_e32 v13, 0x3f0a6770, v7
	v_sub_f32_e32 v8, v45, v8
	v_mul_f32_e32 v7, 0xbf7d64f0, v7
	v_add_f32_e32 v18, v44, v18
	v_add_f32_e32 v26, v34, v26
	;; [unrolled: 1-line block ×4, first 2 shown]
	v_sub_f32_e32 v19, v41, v19
	v_add_f32_e32 v8, v12, v8
	v_mov_b32_e32 v12, v7
	v_mul_f32_e32 v47, 0x3ed4b147, v5
	v_add_f32_e32 v18, v46, v18
	v_add_f32_e32 v22, v26, v22
	;; [unrolled: 1-line block ×5, first 2 shown]
	v_sub_f32_e32 v14, v43, v14
	v_add_f32_e32 v11, v15, v11
	v_fma_f32 v15, v5, s8, -v13
	v_fmac_f32_e32 v13, 0x3f575c64, v5
	v_fmac_f32_e32 v12, 0xbe11bafb, v5
	v_fma_f32 v5, v5, s9, -v7
	v_add_f32_e32 v18, v48, v18
	v_add_f32_e32 v17, v22, v17
	;; [unrolled: 1-line block ×5, first 2 shown]
	v_sub_f32_e32 v10, v47, v10
	v_add_f32_e32 v5, v6, v5
	v_mad_u32_u24 v6, v35, 44, 0
	v_add_f32_e32 v13, v17, v13
	v_add_f32_e32 v15, v20, v15
	;; [unrolled: 1-line block ×4, first 2 shown]
	ds_write2_b32 v6, v18, v9 offset1:1
	ds_write2_b32 v6, v13, v37 offset0:2 offset1:3
	ds_write2_b32 v6, v39, v12 offset0:4 offset1:5
	ds_write2_b32 v6, v5, v10 offset0:6 offset1:7
	ds_write2_b32 v6, v8, v15 offset0:8 offset1:9
	ds_write_b32 v6, v11 offset:40
.LBB0_21:
	s_or_b64 exec, exec, s[6:7]
	v_add_u32_e32 v9, 0xe00, v0
	v_add_u32_e32 v11, 0x1000, v0
	s_waitcnt lgkmcnt(0)
	s_barrier
	v_add_u32_e32 v5, 0xa00, v0
	ds_read2_b32 v[17:18], v9 offset0:39 offset1:149
	v_add_u32_e32 v9, 0x200, v0
	ds_read2_b32 v[15:16], v11 offset0:131 offset1:241
	v_add_u32_e32 v11, 0x600, v0
	v_add_u32_e32 v13, 0x1400, v0
	ds_read2_b32 v[7:8], v0 offset1:110
	ds_read2_b32 v[5:6], v5 offset0:20 offset1:185
	ds_read2_b32 v[9:10], v9 offset0:92 offset1:202
	;; [unrolled: 1-line block ×4, first 2 shown]
	s_and_saveexec_b64 s[2:3], s[0:1]
	s_cbranch_execz .LBB0_23
; %bb.22:
	ds_read_b32 v37, v0 offset:3080
	ds_read_b32 v39, v0 offset:6380
.LBB0_23:
	s_or_b64 exec, exec, s[2:3]
	s_movk_i32 s2, 0x75
	v_mul_lo_u16_sdwa v21, v63, s2 dst_sel:DWORD dst_unused:UNUSED_PAD src0_sel:BYTE_0 src1_sel:DWORD
	v_sub_u16_sdwa v22, v63, v21 dst_sel:DWORD dst_unused:UNUSED_PAD src0_sel:DWORD src1_sel:BYTE_1
	v_lshrrev_b16_e32 v22, 1, v22
	v_and_b32_e32 v22, 0x7f, v22
	v_add_u16_sdwa v21, v22, v21 dst_sel:DWORD dst_unused:UNUSED_PAD src0_sel:DWORD src1_sel:BYTE_1
	v_mul_lo_u16_sdwa v22, v35, s2 dst_sel:DWORD dst_unused:UNUSED_PAD src0_sel:BYTE_0 src1_sel:DWORD
	v_sub_u16_sdwa v23, v35, v22 dst_sel:DWORD dst_unused:UNUSED_PAD src0_sel:DWORD src1_sel:BYTE_1
	v_lshrrev_b16_e32 v23, 1, v23
	v_and_b32_e32 v23, 0x7f, v23
	v_add_u16_sdwa v22, v23, v22 dst_sel:DWORD dst_unused:UNUSED_PAD src0_sel:DWORD src1_sel:BYTE_1
	v_lshrrev_b16_e32 v41, 3, v21
	v_lshrrev_b16_e32 v44, 3, v22
	v_mul_lo_u16_e32 v21, 11, v41
	v_mul_lo_u16_e32 v22, 11, v44
	v_add_u32_e32 v38, 0x1b8, v63
	v_sub_u16_e32 v42, v63, v21
	v_mov_b32_e32 v21, 3
	v_sub_u16_e32 v45, v35, v22
	s_mov_b32 s2, 0xba2f
	v_lshlrev_b32_sdwa v43, v21, v42 dst_sel:DWORD dst_unused:UNUSED_PAD src0_sel:DWORD src1_sel:BYTE_0
	v_lshlrev_b32_sdwa v46, v21, v45 dst_sel:DWORD dst_unused:UNUSED_PAD src0_sel:DWORD src1_sel:BYTE_0
	v_mul_u32_u24_sdwa v21, v38, s2 dst_sel:DWORD dst_unused:UNUSED_PAD src0_sel:WORD_0 src1_sel:DWORD
	v_lshrrev_b32_e32 v47, 19, v21
	v_add_u32_e32 v19, 0x226, v63
	v_mul_lo_u16_e32 v21, 11, v47
	v_sub_u16_e32 v48, v38, v21
	v_mul_u32_u24_sdwa v21, v19, s2 dst_sel:DWORD dst_unused:UNUSED_PAD src0_sel:WORD_0 src1_sel:DWORD
	v_lshrrev_b32_e32 v66, 19, v21
	v_add_u32_e32 v20, 0x294, v63
	v_mul_lo_u16_e32 v21, 11, v66
	v_sub_u16_e32 v67, v19, v21
	v_mul_u32_u24_sdwa v21, v20, s2 dst_sel:DWORD dst_unused:UNUSED_PAD src0_sel:WORD_0 src1_sel:DWORD
	v_lshrrev_b32_e32 v68, 19, v21
	v_mul_lo_u16_e32 v21, 11, v68
	v_sub_u16_e32 v69, v20, v21
	v_add_u32_e32 v36, 0xdc, v63
	v_add_u32_e32 v40, 0x14a, v63
	v_lshlrev_b32_e32 v28, 3, v48
	v_lshlrev_b32_e32 v20, 3, v69
	v_mul_u32_u24_sdwa v27, v36, s2 dst_sel:DWORD dst_unused:UNUSED_PAD src0_sel:WORD_0 src1_sel:DWORD
	v_lshlrev_b32_e32 v19, 3, v67
	global_load_dwordx2 v[25:26], v28, s[12:13]
	global_load_dwordx2 v[23:24], v19, s[12:13]
	;; [unrolled: 1-line block ×3, first 2 shown]
	v_mul_u32_u24_sdwa v20, v40, s2 dst_sel:DWORD dst_unused:UNUSED_PAD src0_sel:WORD_0 src1_sel:DWORD
	v_lshrrev_b32_e32 v70, 19, v27
	v_lshrrev_b32_e32 v72, 19, v20
	v_mul_lo_u16_e32 v19, 11, v70
	v_mul_lo_u16_e32 v20, 11, v72
	v_sub_u16_e32 v71, v36, v19
	v_sub_u16_e32 v73, v40, v20
	v_lshlrev_b32_e32 v19, 3, v71
	v_lshlrev_b32_e32 v20, 3, v73
	global_load_dwordx2 v[33:34], v43, s[12:13]
	global_load_dwordx2 v[31:32], v46, s[12:13]
	;; [unrolled: 1-line block ×4, first 2 shown]
	v_add_u32_e32 v19, 0x302, v63
	v_mul_u32_u24_sdwa v20, v19, s2 dst_sel:DWORD dst_unused:UNUSED_PAD src0_sel:WORD_0 src1_sel:DWORD
	v_lshrrev_b32_e32 v74, 19, v20
	v_mul_lo_u16_e32 v20, 11, v74
	v_sub_u16_e32 v75, v19, v20
	v_lshlrev_b32_e32 v19, 3, v75
	global_load_dwordx2 v[19:20], v19, s[12:13]
	v_mov_b32_e32 v81, 2
	v_mul_u32_u24_e32 v41, 0x58, v41
	v_lshlrev_b32_sdwa v42, v81, v42 dst_sel:DWORD dst_unused:UNUSED_PAD src0_sel:DWORD src1_sel:BYTE_0
	v_add3_u32 v41, 0, v41, v42
	s_waitcnt vmcnt(0) lgkmcnt(0)
	s_barrier
	v_mul_u32_u24_e32 v42, 0x58, v44
	v_lshlrev_b32_e32 v44, 2, v71
	v_mul_f32_e32 v43, v16, v26
	v_fma_f32 v43, v52, v25, -v43
	v_sub_f32_e32 v77, v61, v43
	v_mul_f32_e32 v46, v13, v24
	v_fma_f32 v46, v49, v23, -v46
	v_mul_f32_e32 v76, v14, v22
	v_sub_f32_e32 v78, v62, v46
	v_fma_f32 v76, v50, v21, -v76
	v_sub_f32_e32 v76, v55, v76
	v_mul_f32_e32 v43, v6, v34
	v_fma_f32 v43, v56, v33, -v43
	v_sub_f32_e32 v43, v57, v43
	v_mul_f32_e32 v46, v17, v32
	v_fma_f32 v57, v57, 2.0, -v43
	v_fma_f32 v46, v53, v31, -v46
	ds_write2_b32 v41, v57, v43 offset1:11
	v_lshlrev_b32_sdwa v43, v81, v45 dst_sel:DWORD dst_unused:UNUSED_PAD src0_sel:DWORD src1_sel:BYTE_0
	v_sub_f32_e32 v46, v58, v46
	v_add3_u32 v42, 0, v42, v43
	v_mul_u32_u24_e32 v43, 0x58, v70
	v_fma_f32 v79, v55, 2.0, -v76
	v_mul_f32_e32 v55, v18, v30
	v_fma_f32 v58, v58, 2.0, -v46
	v_add3_u32 v43, 0, v43, v44
	v_mul_u32_u24_e32 v44, 0x58, v72
	v_lshlrev_b32_e32 v45, 2, v73
	v_mul_f32_e32 v80, v15, v28
	v_fma_f32 v55, v54, v29, -v55
	ds_write2_b32 v42, v58, v46 offset1:11
	v_add3_u32 v46, 0, v44, v45
	v_mul_u32_u24_e32 v44, 0x58, v47
	v_lshlrev_b32_e32 v45, 2, v48
	v_fma_f32 v80, v51, v27, -v80
	v_sub_f32_e32 v55, v59, v55
	v_add3_u32 v47, 0, v44, v45
	v_mul_u32_u24_e32 v44, 0x58, v66
	v_lshlrev_b32_e32 v45, 2, v67
	v_sub_f32_e32 v80, v60, v80
	v_fma_f32 v59, v59, 2.0, -v55
	v_add3_u32 v48, 0, v44, v45
	v_mul_u32_u24_e32 v44, 0x58, v68
	v_lshlrev_b32_e32 v45, 2, v69
	v_fma_f32 v61, v61, 2.0, -v77
	v_fma_f32 v62, v62, 2.0, -v78
	;; [unrolled: 1-line block ×3, first 2 shown]
	ds_write2_b32 v43, v59, v55 offset1:11
	v_add3_u32 v55, 0, v44, v45
	v_mul_lo_u16_e32 v44, 22, v74
	v_lshlrev_b32_e32 v45, 2, v75
	ds_write2_b32 v46, v60, v80 offset1:11
	ds_write2_b32 v47, v61, v77 offset1:11
	;; [unrolled: 1-line block ×4, first 2 shown]
	s_and_saveexec_b64 s[2:3], s[0:1]
	s_cbranch_execz .LBB0_25
; %bb.24:
	v_mul_f32_e32 v57, v39, v20
	v_fma_f32 v57, v64, v19, -v57
	v_sub_f32_e32 v57, v65, v57
	v_lshlrev_b32_e32 v59, 2, v44
	v_fma_f32 v58, v65, 2.0, -v57
	v_add3_u32 v59, 0, v45, v59
	ds_write2_b32 v59, v58, v57 offset1:11
.LBB0_25:
	s_or_b64 exec, exec, s[2:3]
	v_mul_f32_e32 v34, v56, v34
	v_fmac_f32_e32 v34, v6, v33
	v_mul_f32_e32 v6, v53, v32
	v_fmac_f32_e32 v6, v17, v31
	v_mul_f32_e32 v17, v54, v30
	v_fmac_f32_e32 v17, v18, v29
	v_mul_f32_e32 v18, v51, v28
	v_fmac_f32_e32 v18, v15, v27
	v_mul_f32_e32 v15, v52, v26
	v_fmac_f32_e32 v15, v16, v25
	v_mul_f32_e32 v16, v49, v24
	v_fmac_f32_e32 v16, v13, v23
	v_mul_f32_e32 v13, v50, v22
	v_fmac_f32_e32 v13, v14, v21
	v_sub_f32_e32 v26, v7, v34
	v_sub_f32_e32 v30, v8, v6
	;; [unrolled: 1-line block ×7, first 2 shown]
	v_add_u32_e32 v27, 0x600, v0
	v_add_u32_e32 v28, 0x1000, v0
	;; [unrolled: 1-line block ×6, first 2 shown]
	v_fma_f32 v29, v7, 2.0, -v26
	v_fma_f32 v31, v8, 2.0, -v30
	;; [unrolled: 1-line block ×7, first 2 shown]
	s_waitcnt lgkmcnt(0)
	s_barrier
	ds_read2_b32 v[9:10], v0 offset1:110
	ds_read2_b32 v[5:6], v27 offset0:56 offset1:166
	ds_read2_b32 v[11:12], v28 offset0:76 offset1:186
	;; [unrolled: 1-line block ×6, first 2 shown]
	ds_read_b32 v25, v0 offset:6160
	s_waitcnt lgkmcnt(0)
	s_barrier
	ds_write2_b32 v41, v29, v26 offset1:11
	ds_write2_b32 v42, v31, v30 offset1:11
	;; [unrolled: 1-line block ×7, first 2 shown]
	s_and_saveexec_b64 s[2:3], s[0:1]
	s_cbranch_execz .LBB0_27
; %bb.26:
	v_mul_f32_e32 v20, v64, v20
	v_fmac_f32_e32 v20, v39, v19
	v_sub_f32_e32 v19, v37, v20
	v_lshlrev_b32_e32 v26, 2, v44
	v_fma_f32 v20, v37, 2.0, -v19
	v_add3_u32 v26, 0, v45, v26
	ds_write2_b32 v26, v20, v19 offset1:11
.LBB0_27:
	s_or_b64 exec, exec, s[2:3]
	v_lshrrev_b16_e32 v19, 1, v63
	v_and_b32_e32 v19, 0x7f, v19
	s_mov_b32 s0, 0xba2f
	v_mul_lo_u16_e32 v19, 0xbb, v19
	v_mul_u32_u24_sdwa v30, v40, s0 dst_sel:DWORD dst_unused:UNUSED_PAD src0_sel:WORD_0 src1_sel:DWORD
	v_lshrrev_b16_e32 v26, 11, v19
	v_mul_u32_u24_sdwa v29, v36, s0 dst_sel:DWORD dst_unused:UNUSED_PAD src0_sel:WORD_0 src1_sel:DWORD
	v_lshrrev_b32_e32 v67, 20, v30
	v_mul_lo_u16_e32 v19, 22, v26
	v_mov_b32_e32 v33, 1
	v_lshrrev_b32_e32 v65, 20, v29
	v_mul_lo_u16_e32 v30, 22, v67
	v_sub_u16_e32 v64, v63, v19
	v_mov_b32_e32 v19, 4
	v_mul_lo_u16_e32 v29, 22, v65
	v_sub_u16_e32 v68, v40, v30
	v_lshrrev_b16_sdwa v33, v33, v35 dst_sel:DWORD dst_unused:UNUSED_PAD src0_sel:DWORD src1_sel:BYTE_0
	v_lshlrev_b32_sdwa v20, v19, v64 dst_sel:DWORD dst_unused:UNUSED_PAD src0_sel:DWORD src1_sel:BYTE_0
	v_sub_u16_e32 v66, v36, v29
	v_lshlrev_b32_e32 v34, 4, v68
	v_mul_lo_u16_e32 v33, 0xbb, v33
	s_waitcnt lgkmcnt(0)
	s_barrier
	v_lshlrev_b32_e32 v29, 4, v66
	global_load_dwordx4 v[39:42], v34, s[12:13] offset:88
	global_load_dwordx4 v[47:50], v20, s[12:13] offset:88
	v_lshrrev_b16_e32 v71, 11, v33
	global_load_dwordx4 v[29:32], v29, s[12:13] offset:88
	v_mul_lo_u16_e32 v20, 22, v71
	v_sub_u16_e32 v72, v35, v20
	v_lshlrev_b32_sdwa v19, v19, v72 dst_sel:DWORD dst_unused:UNUSED_PAD src0_sel:DWORD src1_sel:BYTE_0
	global_load_dwordx4 v[51:54], v19, s[12:13] offset:88
	v_mul_u32_u24_sdwa v34, v38, s0 dst_sel:DWORD dst_unused:UNUSED_PAD src0_sel:WORD_0 src1_sel:DWORD
	v_lshrrev_b32_e32 v69, 20, v34
	v_mul_lo_u16_e32 v34, 22, v69
	v_sub_u16_e32 v70, v38, v34
	v_lshlrev_b32_e32 v34, 4, v70
	global_load_dwordx4 v[43:46], v34, s[12:13] offset:88
	ds_read2_b32 v[19:20], v0 offset1:110
	ds_read2_b32 v[33:34], v27 offset0:56 offset1:166
	ds_read2_b32 v[37:38], v28 offset0:76 offset1:186
	;; [unrolled: 1-line block ×6, first 2 shown]
	ds_read_b32 v73, v0 offset:6160
	s_waitcnt vmcnt(0) lgkmcnt(0)
	s_barrier
	s_movk_i32 s0, 0x42
	v_cmp_gt_u32_e64 s[0:1], s0, v63
	v_mul_f32_e32 v76, v61, v40
	v_mul_f32_e32 v80, v34, v48
	;; [unrolled: 1-line block ×7, first 2 shown]
	v_fma_f32 v6, v6, v47, -v80
	v_fma_f32 v11, v11, v49, -v81
	v_mul_f32_e32 v74, v56, v30
	v_mul_f32_e32 v30, v14, v30
	v_fma_f32 v17, v17, v31, -v75
	v_fmac_f32_e32 v32, v59, v31
	v_add_f32_e32 v31, v6, v11
	v_fma_f32 v14, v14, v29, -v74
	v_fmac_f32_e32 v30, v56, v29
	v_fmac_f32_e32 v48, v34, v47
	;; [unrolled: 1-line block ×3, first 2 shown]
	v_add_f32_e32 v29, v9, v6
	v_fma_f32 v9, -0.5, v31, v9
	v_mul_f32_e32 v82, v55, v52
	v_mul_f32_e32 v83, v38, v54
	v_sub_f32_e32 v31, v48, v50
	v_mov_b32_e32 v34, v9
	v_add_f32_e32 v37, v48, v50
	v_mul_f32_e32 v52, v13, v52
	v_mul_f32_e32 v54, v12, v54
	v_fma_f32 v13, v13, v51, -v82
	v_fma_f32 v12, v12, v53, -v83
	v_fmac_f32_e32 v34, 0x3f5db3d7, v31
	v_fmac_f32_e32 v9, 0xbf5db3d7, v31
	v_add_f32_e32 v31, v19, v48
	v_fma_f32 v19, -0.5, v37, v19
	v_add_f32_e32 v29, v29, v11
	v_sub_f32_e32 v6, v6, v11
	v_mov_b32_e32 v11, v19
	v_add_f32_e32 v37, v13, v12
	v_mul_f32_e32 v40, v15, v40
	v_fmac_f32_e32 v52, v55, v51
	v_fmac_f32_e32 v54, v38, v53
	;; [unrolled: 1-line block ×4, first 2 shown]
	v_add_f32_e32 v6, v10, v13
	v_fmac_f32_e32 v10, -0.5, v37
	v_fma_f32 v15, v15, v39, -v76
	v_fmac_f32_e32 v40, v61, v39
	v_sub_f32_e32 v37, v52, v54
	v_mov_b32_e32 v38, v10
	v_add_f32_e32 v39, v52, v54
	v_fmac_f32_e32 v38, 0x3f5db3d7, v37
	v_fmac_f32_e32 v10, 0xbf5db3d7, v37
	v_add_f32_e32 v37, v20, v52
	v_fmac_f32_e32 v20, -0.5, v39
	v_add_f32_e32 v6, v6, v12
	v_sub_f32_e32 v12, v13, v12
	v_mov_b32_e32 v13, v20
	v_add_f32_e32 v39, v14, v17
	v_mul_f32_e32 v77, v60, v42
	v_mul_f32_e32 v42, v18, v42
	v_fmac_f32_e32 v13, 0xbf5db3d7, v12
	v_fmac_f32_e32 v20, 0x3f5db3d7, v12
	v_add_f32_e32 v12, v7, v14
	v_fma_f32 v7, -0.5, v39, v7
	v_fma_f32 v18, v18, v41, -v77
	v_fmac_f32_e32 v42, v60, v41
	v_sub_f32_e32 v39, v30, v32
	v_mov_b32_e32 v41, v7
	v_fmac_f32_e32 v41, 0x3f5db3d7, v39
	v_fmac_f32_e32 v7, 0xbf5db3d7, v39
	v_add_f32_e32 v39, v57, v30
	v_add_f32_e32 v30, v30, v32
	v_fma_f32 v30, -0.5, v30, v57
	v_add_f32_e32 v12, v12, v17
	v_add_f32_e32 v39, v39, v32
	v_sub_f32_e32 v14, v14, v17
	v_mov_b32_e32 v17, v30
	v_add_f32_e32 v32, v15, v18
	v_mul_f32_e32 v78, v62, v44
	v_mul_f32_e32 v44, v16, v44
	v_fmac_f32_e32 v17, 0xbf5db3d7, v14
	v_fmac_f32_e32 v30, 0x3f5db3d7, v14
	v_add_f32_e32 v14, v8, v15
	v_fmac_f32_e32 v8, -0.5, v32
	v_fma_f32 v16, v16, v43, -v78
	v_fmac_f32_e32 v44, v62, v43
	v_sub_f32_e32 v32, v40, v42
	v_mov_b32_e32 v43, v8
	v_mul_f32_e32 v79, v73, v46
	v_fmac_f32_e32 v43, 0x3f5db3d7, v32
	v_fmac_f32_e32 v8, 0xbf5db3d7, v32
	v_add_f32_e32 v32, v58, v40
	v_add_f32_e32 v40, v40, v42
	v_mul_f32_e32 v46, v25, v46
	v_fma_f32 v25, v25, v45, -v79
	v_fmac_f32_e32 v58, -0.5, v40
	v_add_f32_e32 v14, v14, v18
	v_sub_f32_e32 v15, v15, v18
	v_mov_b32_e32 v18, v58
	v_add_f32_e32 v40, v16, v25
	v_fmac_f32_e32 v46, v73, v45
	v_fmac_f32_e32 v18, 0xbf5db3d7, v15
	v_fmac_f32_e32 v58, 0x3f5db3d7, v15
	v_add_f32_e32 v15, v5, v16
	v_fmac_f32_e32 v5, -0.5, v40
	v_add_f32_e32 v32, v32, v42
	v_sub_f32_e32 v40, v44, v46
	v_mov_b32_e32 v42, v5
	v_fmac_f32_e32 v42, 0x3f5db3d7, v40
	v_fmac_f32_e32 v5, 0xbf5db3d7, v40
	v_add_f32_e32 v40, v33, v44
	v_add_f32_e32 v44, v44, v46
	v_fmac_f32_e32 v33, -0.5, v44
	v_sub_f32_e32 v16, v16, v25
	v_mov_b32_e32 v44, v33
	v_mov_b32_e32 v73, 2
	v_add_f32_e32 v15, v15, v25
	v_fmac_f32_e32 v44, 0xbf5db3d7, v16
	v_fmac_f32_e32 v33, 0x3f5db3d7, v16
	v_mul_u32_u24_e32 v16, 0x108, v26
	v_lshlrev_b32_sdwa v25, v73, v64 dst_sel:DWORD dst_unused:UNUSED_PAD src0_sel:DWORD src1_sel:BYTE_0
	v_add3_u32 v16, 0, v16, v25
	ds_write2_b32 v16, v29, v34 offset1:22
	ds_write_b32 v16, v9 offset:176
	v_mul_u32_u24_e32 v9, 0x108, v71
	v_lshlrev_b32_sdwa v25, v73, v72 dst_sel:DWORD dst_unused:UNUSED_PAD src0_sel:DWORD src1_sel:BYTE_0
	v_add3_u32 v9, 0, v9, v25
	ds_write2_b32 v9, v6, v38 offset1:22
	ds_write_b32 v9, v10 offset:176
	v_mul_u32_u24_e32 v6, 0x108, v65
	v_lshlrev_b32_e32 v10, 2, v66
	v_add3_u32 v6, 0, v6, v10
	ds_write2_b32 v6, v12, v41 offset1:22
	ds_write_b32 v6, v7 offset:176
	v_mul_u32_u24_e32 v7, 0x108, v67
	v_lshlrev_b32_e32 v10, 2, v68
	;; [unrolled: 5-line block ×3, first 2 shown]
	v_add3_u32 v8, 0, v8, v10
	ds_write2_b32 v8, v15, v42 offset1:22
	ds_write_b32 v8, v5 offset:176
	v_add_u32_e32 v5, 0xffffffbe, v63
	v_add_f32_e32 v31, v31, v50
	v_cndmask_b32_e64 v5, v5, v63, s[0:1]
	v_add_f32_e32 v37, v37, v54
	v_add_f32_e32 v40, v40, v46
	s_waitcnt lgkmcnt(0)
	s_barrier
	ds_read2_b32 v[25:26], v0 offset1:110
	ds_read2_b32 v[45:46], v23 offset0:92 offset1:202
	ds_read2_b32 v[47:48], v21 offset0:20 offset1:130
	;; [unrolled: 1-line block ×6, first 2 shown]
	ds_read_b32 v68, v0 offset:6160
	s_waitcnt lgkmcnt(0)
	s_barrier
	ds_write2_b32 v16, v31, v11 offset1:22
	ds_write_b32 v16, v19 offset:176
	ds_write2_b32 v9, v37, v13 offset1:22
	ds_write_b32 v9, v20 offset:176
	;; [unrolled: 2-line block ×5, first 2 shown]
	v_lshlrev_b32_e32 v5, 2, v5
	v_mov_b32_e32 v6, 0
	v_lshlrev_b64 v[7:8], 3, v[5:6]
	v_mov_b32_e32 v9, s13
	v_add_co_u32_e64 v15, s[0:1], s12, v7
	v_addc_co_u32_e64 v16, s[0:1], v9, v8, s[0:1]
	s_movk_i32 s0, 0xf9
	s_waitcnt lgkmcnt(0)
	s_barrier
	global_load_dwordx4 v[7:10], v[15:16], off offset:440
	global_load_dwordx4 v[11:14], v[15:16], off offset:456
	v_mul_lo_u16_sdwa v15, v35, s0 dst_sel:DWORD dst_unused:UNUSED_PAD src0_sel:BYTE_0 src1_sel:DWORD
	v_lshrrev_b16_e32 v69, 14, v15
	v_mul_lo_u16_e32 v15, 0x42, v69
	v_sub_u16_e32 v70, v35, v15
	v_mov_b32_e32 v15, 5
	v_lshlrev_b32_sdwa v19, v15, v70 dst_sel:DWORD dst_unused:UNUSED_PAD src0_sel:DWORD src1_sel:BYTE_0
	s_mov_b32 s0, 0xf83f
	global_load_dwordx4 v[15:18], v19, s[12:13] offset:440
	global_load_dwordx4 v[29:32], v19, s[12:13] offset:456
	v_mul_u32_u24_sdwa v19, v36, s0 dst_sel:DWORD dst_unused:UNUSED_PAD src0_sel:WORD_0 src1_sel:DWORD
	v_lshrrev_b32_e32 v71, 22, v19
	v_mul_lo_u16_e32 v19, 0x42, v71
	v_sub_u16_e32 v72, v36, v19
	v_lshlrev_b32_e32 v19, 5, v72
	global_load_dwordx4 v[37:40], v19, s[12:13] offset:440
	global_load_dwordx4 v[41:44], v19, s[12:13] offset:456
	ds_read2_b32 v[33:34], v0 offset1:110
	ds_read2_b32 v[57:58], v23 offset0:92 offset1:202
	ds_read2_b32 v[19:20], v21 offset0:20 offset1:130
	;; [unrolled: 1-line block ×6, first 2 shown]
	ds_read_b32 v74, v0 offset:6160
	s_movk_i32 s0, 0x41
	v_cmp_lt_u32_e64 s[0:1], s0, v63
	s_waitcnt vmcnt(0) lgkmcnt(0)
	s_barrier
	v_mul_f32_e32 v75, v58, v8
	v_mul_f32_e32 v8, v46, v8
	v_fma_f32 v75, v46, v7, -v75
	v_fmac_f32_e32 v8, v58, v7
	v_mul_f32_e32 v7, v19, v10
	v_mul_f32_e32 v10, v47, v10
	v_fma_f32 v7, v47, v9, -v7
	v_fmac_f32_e32 v10, v19, v9
	v_mul_f32_e32 v9, v60, v12
	v_mul_f32_e32 v19, v64, v16
	;; [unrolled: 1-line block ×3, first 2 shown]
	v_fma_f32 v9, v50, v11, -v9
	v_mul_f32_e32 v12, v50, v12
	v_fma_f32 v19, v53, v15, -v19
	v_fmac_f32_e32 v16, v64, v15
	v_mul_f32_e32 v15, v20, v18
	v_mul_f32_e32 v18, v48, v18
	v_fmac_f32_e32 v12, v60, v11
	v_mul_f32_e32 v11, v61, v14
	v_mul_f32_e32 v14, v51, v14
	v_fma_f32 v15, v48, v17, -v15
	v_fmac_f32_e32 v18, v20, v17
	v_mul_f32_e32 v17, v66, v30
	v_mul_f32_e32 v20, v55, v30
	v_add_f32_e32 v46, v7, v9
	v_fmac_f32_e32 v14, v61, v13
	v_fma_f32 v17, v55, v29, -v17
	v_fmac_f32_e32 v20, v66, v29
	v_mul_f32_e32 v29, v62, v32
	v_mul_f32_e32 v30, v52, v32
	;; [unrolled: 1-line block ×4, first 2 shown]
	v_fma_f32 v46, -0.5, v46, v25
	v_fma_f32 v11, v51, v13, -v11
	v_fma_f32 v32, v54, v37, -v32
	v_fmac_f32_e32 v38, v65, v37
	v_mul_f32_e32 v37, v59, v40
	v_sub_f32_e32 v47, v8, v14
	v_mov_b32_e32 v48, v46
	v_fma_f32 v37, v49, v39, -v37
	v_mul_f32_e32 v40, v49, v40
	v_fmac_f32_e32 v48, 0x3f737871, v47
	v_sub_f32_e32 v49, v10, v12
	v_sub_f32_e32 v50, v75, v7
	;; [unrolled: 1-line block ×3, first 2 shown]
	v_fmac_f32_e32 v46, 0xbf737871, v47
	v_fmac_f32_e32 v40, v59, v39
	v_mul_f32_e32 v39, v67, v42
	v_mul_f32_e32 v42, v56, v42
	v_fmac_f32_e32 v48, 0x3f167918, v49
	v_add_f32_e32 v50, v50, v51
	v_fmac_f32_e32 v46, 0xbf167918, v49
	v_fma_f32 v39, v56, v41, -v39
	v_fmac_f32_e32 v42, v67, v41
	v_mul_f32_e32 v41, v74, v44
	v_mul_f32_e32 v44, v68, v44
	v_fmac_f32_e32 v48, 0x3e9e377a, v50
	v_fmac_f32_e32 v46, 0x3e9e377a, v50
	v_add_f32_e32 v50, v75, v11
	v_fma_f32 v41, v68, v43, -v41
	v_fmac_f32_e32 v44, v74, v43
	v_add_f32_e32 v43, v25, v75
	v_fma_f32 v25, -0.5, v50, v25
	v_mov_b32_e32 v50, v25
	v_fma_f32 v29, v52, v31, -v29
	v_add_f32_e32 v43, v43, v7
	v_fmac_f32_e32 v50, 0xbf737871, v49
	v_sub_f32_e32 v51, v7, v75
	v_sub_f32_e32 v52, v9, v11
	v_fmac_f32_e32 v25, 0x3f737871, v49
	v_add_f32_e32 v49, v10, v12
	v_add_f32_e32 v43, v43, v9
	v_fmac_f32_e32 v50, 0x3f167918, v47
	v_add_f32_e32 v51, v51, v52
	v_fmac_f32_e32 v25, 0xbf167918, v47
	v_fma_f32 v49, -0.5, v49, v33
	v_add_f32_e32 v43, v43, v11
	v_fmac_f32_e32 v50, 0x3e9e377a, v51
	v_fmac_f32_e32 v25, 0x3e9e377a, v51
	v_sub_f32_e32 v11, v75, v11
	v_mov_b32_e32 v51, v49
	v_fmac_f32_e32 v51, 0xbf737871, v11
	v_sub_f32_e32 v7, v7, v9
	v_sub_f32_e32 v9, v8, v10
	;; [unrolled: 1-line block ×3, first 2 shown]
	v_fmac_f32_e32 v49, 0x3f737871, v11
	v_fmac_f32_e32 v51, 0xbf167918, v7
	v_add_f32_e32 v9, v9, v52
	v_fmac_f32_e32 v49, 0x3f167918, v7
	v_fmac_f32_e32 v51, 0x3e9e377a, v9
	;; [unrolled: 1-line block ×3, first 2 shown]
	v_add_f32_e32 v9, v8, v14
	v_fma_f32 v9, -0.5, v9, v33
	v_add_f32_e32 v47, v33, v8
	v_mov_b32_e32 v33, v9
	v_add_f32_e32 v47, v47, v10
	v_fmac_f32_e32 v33, 0x3f737871, v7
	v_sub_f32_e32 v8, v10, v8
	v_sub_f32_e32 v10, v12, v14
	v_fmac_f32_e32 v9, 0xbf737871, v7
	v_fmac_f32_e32 v33, 0xbf167918, v11
	v_add_f32_e32 v8, v8, v10
	v_fmac_f32_e32 v9, 0x3f167918, v11
	v_fmac_f32_e32 v33, 0x3e9e377a, v8
	;; [unrolled: 1-line block ×3, first 2 shown]
	v_add_f32_e32 v8, v15, v17
	v_fmac_f32_e32 v30, v62, v31
	v_fma_f32 v8, -0.5, v8, v26
	v_add_f32_e32 v47, v47, v12
	v_sub_f32_e32 v10, v16, v30
	v_mov_b32_e32 v11, v8
	v_add_f32_e32 v47, v47, v14
	v_fmac_f32_e32 v11, 0x3f737871, v10
	v_sub_f32_e32 v12, v18, v20
	v_sub_f32_e32 v14, v19, v15
	;; [unrolled: 1-line block ×3, first 2 shown]
	v_fmac_f32_e32 v8, 0xbf737871, v10
	v_fmac_f32_e32 v11, 0x3f167918, v12
	v_add_f32_e32 v14, v14, v52
	v_fmac_f32_e32 v8, 0xbf167918, v12
	v_fmac_f32_e32 v11, 0x3e9e377a, v14
	;; [unrolled: 1-line block ×3, first 2 shown]
	v_add_f32_e32 v14, v19, v29
	v_add_f32_e32 v7, v26, v19
	v_fmac_f32_e32 v26, -0.5, v14
	v_mov_b32_e32 v14, v26
	v_fmac_f32_e32 v14, 0xbf737871, v12
	v_sub_f32_e32 v52, v15, v19
	v_sub_f32_e32 v53, v17, v29
	v_fmac_f32_e32 v26, 0x3f737871, v12
	v_add_f32_e32 v12, v18, v20
	v_add_f32_e32 v7, v7, v15
	v_fmac_f32_e32 v14, 0x3f167918, v10
	v_add_f32_e32 v52, v52, v53
	v_fmac_f32_e32 v26, 0xbf167918, v10
	v_fma_f32 v12, -0.5, v12, v34
	v_add_f32_e32 v7, v7, v17
	v_fmac_f32_e32 v14, 0x3e9e377a, v52
	v_fmac_f32_e32 v26, 0x3e9e377a, v52
	v_sub_f32_e32 v19, v19, v29
	v_mov_b32_e32 v52, v12
	v_add_f32_e32 v7, v7, v29
	v_fmac_f32_e32 v52, 0xbf737871, v19
	v_sub_f32_e32 v15, v15, v17
	v_sub_f32_e32 v17, v16, v18
	;; [unrolled: 1-line block ×3, first 2 shown]
	v_fmac_f32_e32 v12, 0x3f737871, v19
	v_fmac_f32_e32 v52, 0xbf167918, v15
	v_add_f32_e32 v17, v17, v29
	v_fmac_f32_e32 v12, 0x3f167918, v15
	v_fmac_f32_e32 v52, 0x3e9e377a, v17
	;; [unrolled: 1-line block ×3, first 2 shown]
	v_add_f32_e32 v17, v16, v30
	v_add_f32_e32 v10, v34, v16
	v_fmac_f32_e32 v34, -0.5, v17
	v_mov_b32_e32 v17, v34
	v_add_f32_e32 v10, v10, v18
	v_fmac_f32_e32 v17, 0x3f737871, v15
	v_sub_f32_e32 v16, v18, v16
	v_sub_f32_e32 v18, v20, v30
	v_fmac_f32_e32 v34, 0xbf737871, v15
	v_fmac_f32_e32 v17, 0xbf167918, v19
	v_add_f32_e32 v16, v16, v18
	v_fmac_f32_e32 v34, 0x3f167918, v19
	v_fmac_f32_e32 v17, 0x3e9e377a, v16
	;; [unrolled: 1-line block ×3, first 2 shown]
	v_add_f32_e32 v16, v37, v39
	v_fma_f32 v16, -0.5, v16, v45
	v_add_f32_e32 v10, v10, v20
	v_sub_f32_e32 v18, v38, v44
	v_mov_b32_e32 v19, v16
	v_add_f32_e32 v10, v10, v30
	v_fmac_f32_e32 v19, 0x3f737871, v18
	v_sub_f32_e32 v20, v40, v42
	v_sub_f32_e32 v29, v32, v37
	v_sub_f32_e32 v30, v41, v39
	v_fmac_f32_e32 v16, 0xbf737871, v18
	v_fmac_f32_e32 v19, 0x3f167918, v20
	v_add_f32_e32 v29, v29, v30
	v_fmac_f32_e32 v16, 0xbf167918, v20
	v_fmac_f32_e32 v19, 0x3e9e377a, v29
	;; [unrolled: 1-line block ×3, first 2 shown]
	v_add_f32_e32 v29, v32, v41
	v_add_f32_e32 v15, v45, v32
	v_fmac_f32_e32 v45, -0.5, v29
	v_mov_b32_e32 v29, v45
	v_fmac_f32_e32 v29, 0xbf737871, v20
	v_sub_f32_e32 v30, v37, v32
	v_sub_f32_e32 v53, v39, v41
	v_fmac_f32_e32 v45, 0x3f737871, v20
	v_add_f32_e32 v20, v40, v42
	v_add_f32_e32 v30, v30, v53
	v_fma_f32 v53, -0.5, v20, v57
	v_add_f32_e32 v15, v15, v37
	v_fmac_f32_e32 v29, 0x3f167918, v18
	v_fmac_f32_e32 v45, 0xbf167918, v18
	v_sub_f32_e32 v20, v32, v41
	v_mov_b32_e32 v32, v53
	v_add_f32_e32 v15, v15, v39
	v_fmac_f32_e32 v29, 0x3e9e377a, v30
	v_fmac_f32_e32 v45, 0x3e9e377a, v30
	;; [unrolled: 1-line block ×3, first 2 shown]
	v_sub_f32_e32 v30, v37, v39
	v_sub_f32_e32 v37, v38, v40
	;; [unrolled: 1-line block ×3, first 2 shown]
	v_fmac_f32_e32 v53, 0x3f737871, v20
	v_fmac_f32_e32 v32, 0xbf167918, v30
	v_add_f32_e32 v37, v37, v39
	v_fmac_f32_e32 v53, 0x3f167918, v30
	v_fmac_f32_e32 v32, 0x3e9e377a, v37
	;; [unrolled: 1-line block ×3, first 2 shown]
	v_add_f32_e32 v37, v38, v44
	v_add_f32_e32 v18, v57, v38
	v_fmac_f32_e32 v57, -0.5, v37
	v_mov_b32_e32 v37, v57
	v_fmac_f32_e32 v37, 0x3f737871, v30
	v_fmac_f32_e32 v57, 0xbf737871, v30
	v_fmac_f32_e32 v37, 0xbf167918, v20
	v_fmac_f32_e32 v57, 0x3f167918, v20
	v_mov_b32_e32 v20, 0x528
	v_sub_f32_e32 v38, v40, v38
	v_sub_f32_e32 v39, v42, v44
	v_cndmask_b32_e64 v20, 0, v20, s[0:1]
	v_lshlrev_b32_sdwa v13, v73, v70 dst_sel:DWORD dst_unused:UNUSED_PAD src0_sel:DWORD src1_sel:BYTE_0
	v_add_f32_e32 v38, v38, v39
	v_add3_u32 v5, 0, v20, v5
	v_mul_u32_u24_e32 v20, 0x528, v69
	v_fmac_f32_e32 v37, 0x3e9e377a, v38
	v_fmac_f32_e32 v57, 0x3e9e377a, v38
	v_add3_u32 v38, 0, v20, v13
	v_lshlrev_b32_e32 v31, 2, v72
	ds_write2_b32 v5, v43, v48 offset1:66
	ds_write2_b32 v5, v50, v25 offset0:132 offset1:198
	ds_write_b32 v5, v46 offset:1056
	ds_write2_b32 v38, v7, v11 offset1:66
	ds_write2_b32 v38, v14, v26 offset0:132 offset1:198
	ds_write_b32 v38, v8 offset:1056
	v_mul_u32_u24_e32 v7, 0x528, v71
	v_add_f32_e32 v15, v15, v41
	v_add3_u32 v8, 0, v7, v31
	ds_write2_b32 v8, v15, v19 offset1:66
	ds_write2_b32 v8, v29, v45 offset0:132 offset1:198
	ds_write_b32 v8, v16 offset:1056
	s_waitcnt lgkmcnt(0)
	s_barrier
	ds_read2_b32 v[13:14], v0 offset1:110
	ds_read2_b32 v[19:20], v23 offset0:92 offset1:202
	ds_read2_b32 v[25:26], v21 offset0:20 offset1:130
	;; [unrolled: 1-line block ×6, first 2 shown]
	ds_read_b32 v7, v0 offset:6160
	v_add_f32_e32 v18, v18, v40
	v_add_f32_e32 v18, v18, v42
	;; [unrolled: 1-line block ×3, first 2 shown]
	s_waitcnt lgkmcnt(0)
	s_barrier
	ds_write2_b32 v5, v47, v51 offset1:66
	ds_write2_b32 v5, v33, v9 offset0:132 offset1:198
	ds_write_b32 v5, v49 offset:1056
	ds_write2_b32 v38, v10, v52 offset1:66
	ds_write2_b32 v38, v17, v34 offset0:132 offset1:198
	ds_write_b32 v38, v12 offset:1056
	;; [unrolled: 3-line block ×3, first 2 shown]
	s_waitcnt lgkmcnt(0)
	s_barrier
	s_and_saveexec_b64 s[0:1], vcc
	s_cbranch_execz .LBB0_29
; %bb.28:
	v_lshlrev_b32_e32 v5, 2, v36
	v_lshlrev_b64 v[8:9], 3, v[5:6]
	v_mov_b32_e32 v43, s13
	v_add_co_u32_e32 v15, vcc, s12, v8
	v_addc_co_u32_e32 v16, vcc, v43, v9, vcc
	global_load_dwordx4 v[8:11], v[15:16], off offset:2552
	global_load_dwordx4 v[31:34], v[15:16], off offset:2568
	v_mul_lo_u32 v12, s5, v3
	v_mad_u64_u32 v[17:18], s[0:1], s4, v3, 0
	v_add_u32_e32 v3, 0x600, v0
	v_add_u32_e32 v5, 0x1000, v0
	v_mul_lo_u32 v15, s4, v4
	v_add_u32_e32 v4, 0xc00, v0
	ds_read_b32 v16, v0 offset:6160
	v_add_u32_e32 v36, 0x200, v0
	ds_read2_b32 v[47:48], v3 offset0:56 offset1:166
	ds_read2_b32 v[49:50], v4 offset0:112 offset1:222
	;; [unrolled: 1-line block ×4, first 2 shown]
	v_lshlrev_b32_e32 v5, 2, v35
	v_lshlrev_b64 v[3:4], 3, v[5:6]
	v_add3_u32 v18, v18, v15, v12
	v_add_co_u32_e32 v3, vcc, s12, v3
	v_addc_co_u32_e32 v4, vcc, v43, v4, vcc
	global_load_dwordx4 v[35:38], v[3:4], off offset:2568
	global_load_dwordx4 v[39:42], v[3:4], off offset:2552
	s_mov_b32 s0, 0x634c0635
	v_lshlrev_b64 v[17:18], 3, v[17:18]
	s_movk_i32 s4, 0x672
	s_waitcnt vmcnt(3)
	v_mul_f32_e32 v15, v23, v11
	s_waitcnt vmcnt(2)
	v_mul_f32_e32 v45, v28, v32
	v_mul_f32_e32 v5, v30, v9
	;; [unrolled: 1-line block ×3, first 2 shown]
	s_waitcnt lgkmcnt(2)
	v_mul_f32_e32 v3, v49, v11
	s_waitcnt lgkmcnt(1)
	v_mul_f32_e32 v4, v52, v32
	v_mul_f32_e32 v11, v16, v34
	v_fmac_f32_e32 v15, v49, v10
	v_fmac_f32_e32 v45, v52, v31
	v_mul_f32_e32 v9, v48, v9
	v_fmac_f32_e32 v5, v48, v8
	v_fmac_f32_e32 v44, v16, v33
	v_fma_f32 v23, v23, v10, -v3
	v_fma_f32 v28, v28, v31, -v4
	;; [unrolled: 1-line block ×3, first 2 shown]
	v_add_f32_e32 v7, v15, v45
	v_fma_f32 v30, v30, v8, -v9
	v_sub_f32_e32 v3, v5, v15
	v_sub_f32_e32 v4, v44, v45
	v_add_f32_e32 v10, v23, v28
	v_sub_f32_e32 v33, v5, v44
	v_sub_f32_e32 v46, v15, v5
	v_add_f32_e32 v49, v5, v44
	s_waitcnt lgkmcnt(0)
	v_fma_f32 v12, -0.5, v7, v53
	v_add_f32_e32 v5, v5, v53
	v_sub_f32_e32 v32, v30, v31
	v_sub_f32_e32 v8, v30, v23
	;; [unrolled: 1-line block ×3, first 2 shown]
	v_add_f32_e32 v57, v3, v4
	v_fma_f32 v11, -0.5, v10, v19
	v_fma_f32 v10, -0.5, v49, v53
	v_mov_b32_e32 v4, v12
	v_add_f32_e32 v5, v15, v5
	v_sub_f32_e32 v16, v23, v28
	v_add_f32_e32 v56, v30, v31
	v_add_f32_e32 v58, v8, v9
	v_mov_b32_e32 v8, v10
	v_fmac_f32_e32 v4, 0x3f737871, v32
	v_fmac_f32_e32 v12, 0xbf737871, v32
	v_add_f32_e32 v5, v45, v5
	v_fma_f32 v9, -0.5, v56, v19
	v_fmac_f32_e32 v10, 0x3f737871, v16
	v_fmac_f32_e32 v8, 0xbf737871, v16
	;; [unrolled: 1-line block ×4, first 2 shown]
	v_add_f32_e32 v16, v44, v5
	v_add_f32_e32 v5, v19, v30
	v_sub_f32_e32 v34, v15, v45
	v_mov_b32_e32 v7, v9
	v_add_f32_e32 v5, v5, v23
	v_sub_f32_e32 v48, v45, v44
	v_sub_f32_e32 v52, v23, v30
	;; [unrolled: 1-line block ×3, first 2 shown]
	v_fmac_f32_e32 v9, 0xbf737871, v34
	v_fmac_f32_e32 v7, 0x3f737871, v34
	v_add_f32_e32 v5, v5, v28
	v_add_f32_e32 v46, v46, v48
	v_add_f32_e32 v48, v52, v55
	v_fmac_f32_e32 v9, 0x3f167918, v33
	v_fmac_f32_e32 v7, 0xbf167918, v33
	v_add_f32_e32 v15, v31, v5
	v_add_u32_e32 v5, 0xa00, v0
	v_fmac_f32_e32 v7, 0x3e9e377a, v48
	v_fmac_f32_e32 v9, 0x3e9e377a, v48
	ds_read2_b32 v[48:49], v5 offset0:20 offset1:130
	v_lshlrev_b32_e32 v5, 2, v63
	v_lshlrev_b64 v[5:6], 3, v[5:6]
	v_mov_b32_e32 v3, v11
	v_add_co_u32_e32 v5, vcc, s12, v5
	v_fmac_f32_e32 v10, 0xbf167918, v32
	v_fmac_f32_e32 v8, 0x3f167918, v32
	v_addc_co_u32_e32 v6, vcc, v43, v6, vcc
	v_fmac_f32_e32 v3, 0xbf737871, v33
	v_fmac_f32_e32 v10, 0x3e9e377a, v46
	;; [unrolled: 1-line block ×4, first 2 shown]
	global_load_dwordx4 v[30:33], v[5:6], off offset:2568
	global_load_dwordx4 v[43:46], v[5:6], off offset:2552
	v_add_u32_e32 v5, 0x1400, v0
	ds_read2_b32 v[5:6], v5 offset0:40 offset1:150
	s_waitcnt vmcnt(2)
	v_mul_f32_e32 v19, v26, v42
	v_mul_f32_e32 v52, v29, v40
	;; [unrolled: 1-line block ×4, first 2 shown]
	s_waitcnt lgkmcnt(1)
	v_fmac_f32_e32 v19, v49, v41
	v_fmac_f32_e32 v52, v47, v39
	;; [unrolled: 1-line block ×3, first 2 shown]
	s_waitcnt lgkmcnt(0)
	v_fmac_f32_e32 v55, v6, v37
	v_sub_f32_e32 v23, v19, v52
	v_sub_f32_e32 v28, v53, v55
	v_add_f32_e32 v56, v23, v28
	v_mul_f32_e32 v23, v47, v40
	v_fma_f32 v40, v29, v39, -v23
	ds_read2_b32 v[28:29], v0 offset1:110
	v_mul_f32_e32 v0, v6, v38
	v_fma_f32 v0, v22, v37, -v0
	v_add_f32_e32 v22, v52, v55
	v_fmac_f32_e32 v3, 0xbf167918, v34
	s_waitcnt lgkmcnt(0)
	v_fma_f32 v23, -0.5, v22, v29
	v_mul_f32_e32 v22, v49, v42
	v_fma_f32 v38, v26, v41, -v22
	v_mul_f32_e32 v22, v51, v36
	v_fmac_f32_e32 v11, 0x3f167918, v34
	v_fma_f32 v41, v27, v35, -v22
	v_sub_f32_e32 v34, v52, v19
	v_sub_f32_e32 v35, v55, v53
	v_fmac_f32_e32 v4, 0x3e9e377a, v57
	v_fmac_f32_e32 v12, 0x3e9e377a, v57
	v_add_f32_e32 v57, v34, v35
	v_add_f32_e32 v34, v19, v53
	v_sub_f32_e32 v22, v38, v40
	v_sub_f32_e32 v26, v41, v0
	v_fma_f32 v35, -0.5, v34, v29
	v_sub_f32_e32 v34, v40, v38
	v_sub_f32_e32 v36, v0, v41
	v_fmac_f32_e32 v3, 0x3e9e377a, v58
	v_fmac_f32_e32 v11, 0x3e9e377a, v58
	v_add_f32_e32 v47, v22, v26
	v_add_f32_e32 v22, v40, v0
	v_add_f32_e32 v58, v34, v36
	v_add_f32_e32 v34, v38, v41
	v_fma_f32 v22, -0.5, v22, v14
	v_fma_f32 v34, -0.5, v34, v14
	v_add_f32_e32 v14, v14, v40
	v_add_f32_e32 v14, v38, v14
	;; [unrolled: 1-line block ×4, first 2 shown]
	v_sub_f32_e32 v6, v40, v0
	v_sub_f32_e32 v42, v38, v41
	v_mov_b32_e32 v27, v23
	v_sub_f32_e32 v49, v19, v53
	v_add_f32_e32 v19, v19, v29
	v_add_f32_e32 v38, v14, v0
	v_fmac_f32_e32 v27, 0xbf737871, v42
	v_mov_b32_e32 v37, v35
	v_add_f32_e32 v19, v53, v19
	v_fmac_f32_e32 v23, 0x3f737871, v42
	v_fmac_f32_e32 v27, 0x3f167918, v6
	;; [unrolled: 1-line block ×3, first 2 shown]
	v_add_f32_e32 v39, v55, v19
	v_fmac_f32_e32 v23, 0xbf167918, v6
	v_fmac_f32_e32 v35, 0x3f737871, v6
	;; [unrolled: 1-line block ×4, first 2 shown]
	v_mov_b32_e32 v26, v22
	v_fmac_f32_e32 v26, 0x3f737871, v49
	v_sub_f32_e32 v51, v52, v55
	v_fmac_f32_e32 v22, 0xbf737871, v49
	v_fmac_f32_e32 v26, 0xbf167918, v51
	v_fmac_f32_e32 v22, 0x3f167918, v51
	v_fmac_f32_e32 v26, 0x3e9e377a, v47
	v_fmac_f32_e32 v22, 0x3e9e377a, v47
	v_mov_b32_e32 v36, v34
	v_fmac_f32_e32 v36, 0x3f737871, v51
	v_fmac_f32_e32 v34, 0xbf737871, v51
	;; [unrolled: 1-line block ×3, first 2 shown]
	s_waitcnt vmcnt(1)
	v_mul_f32_e32 v40, v21, v33
	s_waitcnt vmcnt(0)
	v_mul_f32_e32 v0, v20, v44
	v_mul_f32_e32 v14, v25, v46
	;; [unrolled: 1-line block ×3, first 2 shown]
	v_fmac_f32_e32 v0, v54, v43
	v_fmac_f32_e32 v14, v48, v45
	;; [unrolled: 1-line block ×4, first 2 shown]
	v_sub_f32_e32 v6, v0, v14
	v_sub_f32_e32 v19, v40, v41
	v_add_f32_e32 v42, v6, v19
	v_mul_f32_e32 v6, v48, v46
	v_fma_f32 v45, v25, v45, -v6
	v_mul_f32_e32 v6, v50, v31
	v_mul_f32_e32 v5, v5, v33
	v_fma_f32 v46, v24, v30, -v6
	v_mul_f32_e32 v6, v54, v44
	v_fma_f32 v21, v21, v32, -v5
	v_add_f32_e32 v5, v14, v41
	v_sub_f32_e32 v24, v14, v0
	v_sub_f32_e32 v25, v41, v40
	v_fma_f32 v43, v20, v43, -v6
	v_fma_f32 v6, -0.5, v5, v28
	v_add_f32_e32 v48, v24, v25
	v_add_f32_e32 v24, v0, v40
	v_sub_f32_e32 v32, v43, v21
	v_mov_b32_e32 v20, v6
	v_fma_f32 v25, -0.5, v24, v28
	v_sub_f32_e32 v31, v45, v46
	v_fmac_f32_e32 v20, 0x3f737871, v32
	v_mov_b32_e32 v30, v25
	v_fmac_f32_e32 v6, 0xbf737871, v32
	v_fmac_f32_e32 v20, 0x3f167918, v31
	;; [unrolled: 1-line block ×5, first 2 shown]
	v_mul_hi_u32 v31, v63, s0
	v_sub_f32_e32 v44, v0, v40
	v_add_f32_e32 v0, v0, v28
	v_sub_f32_e32 v47, v14, v41
	v_add_f32_e32 v0, v14, v0
	v_lshrrev_b32_e32 v14, 7, v31
	v_mul_u32_u24_e32 v14, 0x14a, v14
	v_sub_f32_e32 v5, v43, v45
	v_sub_f32_e32 v19, v21, v46
	v_sub_u32_e32 v28, v63, v14
	v_add_f32_e32 v33, v5, v19
	v_add_f32_e32 v5, v45, v46
	v_fmac_f32_e32 v30, 0x3f167918, v32
	v_fmac_f32_e32 v25, 0xbf167918, v32
	v_mad_u64_u32 v[31:32], s[2:3], s20, v28, 0
	v_fma_f32 v5, -0.5, v5, v13
	v_mov_b32_e32 v19, v5
	v_sub_f32_e32 v24, v45, v43
	v_sub_f32_e32 v29, v46, v21
	v_fmac_f32_e32 v34, 0xbf167918, v49
	v_fmac_f32_e32 v19, 0xbf737871, v44
	v_add_f32_e32 v49, v24, v29
	v_add_f32_e32 v24, v43, v21
	v_fmac_f32_e32 v5, 0x3f737871, v44
	v_add_f32_e32 v0, v41, v0
	v_fmac_f32_e32 v19, 0xbf167918, v47
	v_fma_f32 v24, -0.5, v24, v13
	v_fmac_f32_e32 v5, 0x3f167918, v47
	v_add_f32_e32 v14, v40, v0
	v_add_f32_e32 v13, v13, v43
	v_mov_b32_e32 v0, v32
	v_fmac_f32_e32 v19, 0x3e9e377a, v33
	v_fmac_f32_e32 v5, 0x3e9e377a, v33
	v_mad_u64_u32 v[32:33], s[2:3], s21, v28, v[0:1]
	v_add_f32_e32 v0, v13, v45
	v_add_f32_e32 v0, v0, v46
	;; [unrolled: 1-line block ×3, first 2 shown]
	v_mov_b32_e32 v0, s11
	v_add_co_u32_e32 v21, vcc, s10, v17
	v_add_u32_e32 v40, 0x14a, v28
	v_addc_co_u32_e32 v33, vcc, v0, v18, vcc
	v_mad_u64_u32 v[17:18], s[2:3], s20, v40, 0
	v_lshlrev_b64 v[0:1], 3, v[1:2]
	v_fmac_f32_e32 v6, 0x3e9e377a, v42
	v_add_co_u32_e32 v21, vcc, v21, v0
	v_mov_b32_e32 v2, v18
	v_addc_co_u32_e32 v33, vcc, v33, v1, vcc
	v_lshlrev_b64 v[0:1], 3, v[31:32]
	v_mad_u64_u32 v[31:32], s[2:3], s21, v40, v[2:3]
	v_add_co_u32_e32 v0, vcc, v21, v0
	v_addc_co_u32_e32 v1, vcc, v33, v1, vcc
	v_mov_b32_e32 v18, v31
	global_store_dwordx2 v[0:1], v[13:14], off
	v_lshlrev_b64 v[0:1], 3, v[17:18]
	v_add_u32_e32 v17, 0x294, v28
	v_mad_u64_u32 v[13:14], s[2:3], s20, v17, 0
	v_add_co_u32_e32 v0, vcc, v21, v0
	v_mov_b32_e32 v2, v14
	v_mad_u64_u32 v[17:18], s[2:3], s21, v17, v[2:3]
	v_add_u32_e32 v18, 0x3de, v28
	v_mad_u64_u32 v[31:32], s[2:3], s20, v18, 0
	v_addc_co_u32_e32 v1, vcc, v33, v1, vcc
	v_mov_b32_e32 v2, v32
	global_store_dwordx2 v[0:1], v[5:6], off
	v_mad_u64_u32 v[5:6], s[2:3], s21, v18, v[2:3]
	v_mov_b32_e32 v14, v17
	v_lshlrev_b64 v[0:1], 3, v[13:14]
	v_add_u32_e32 v13, 0x528, v28
	v_mov_b32_e32 v32, v5
	v_mad_u64_u32 v[5:6], s[2:3], s20, v13, 0
	v_mov_b32_e32 v29, v24
	v_fmac_f32_e32 v24, 0xbf737871, v47
	v_fmac_f32_e32 v24, 0x3f167918, v44
	v_add_co_u32_e32 v0, vcc, v21, v0
	v_mov_b32_e32 v2, v6
	v_fmac_f32_e32 v25, 0x3e9e377a, v48
	v_fmac_f32_e32 v24, 0x3e9e377a, v49
	v_addc_co_u32_e32 v1, vcc, v33, v1, vcc
	v_mad_u64_u32 v[13:14], s[2:3], s21, v13, v[2:3]
	v_add_u32_e32 v2, 0x6e, v63
	global_store_dwordx2 v[0:1], v[24:25], off
	v_lshlrev_b64 v[0:1], 3, v[31:32]
	v_mul_hi_u32 v14, v2, s0
	v_fmac_f32_e32 v29, 0x3f737871, v47
	v_fmac_f32_e32 v29, 0xbf167918, v44
	v_add_co_u32_e32 v0, vcc, v21, v0
	v_fmac_f32_e32 v30, 0x3e9e377a, v48
	v_fmac_f32_e32 v29, 0x3e9e377a, v49
	v_addc_co_u32_e32 v1, vcc, v33, v1, vcc
	v_mov_b32_e32 v6, v13
	global_store_dwordx2 v[0:1], v[29:30], off
	v_lshlrev_b64 v[0:1], 3, v[5:6]
	v_lshrrev_b32_e32 v5, 7, v14
	v_mul_u32_u24_e32 v6, 0x14a, v5
	v_sub_u32_e32 v2, v2, v6
	v_mad_u32_u24 v24, v5, s4, v2
	v_mad_u64_u32 v[5:6], s[2:3], s20, v24, 0
	v_add_co_u32_e32 v0, vcc, v21, v0
	v_mov_b32_e32 v2, v6
	v_mad_u64_u32 v[13:14], s[2:3], s21, v24, v[2:3]
	v_add_u32_e32 v14, 0x14a, v24
	v_mad_u64_u32 v[17:18], s[2:3], s20, v14, 0
	v_fmac_f32_e32 v20, 0x3e9e377a, v42
	v_addc_co_u32_e32 v1, vcc, v33, v1, vcc
	v_mov_b32_e32 v6, v13
	v_mov_b32_e32 v2, v18
	global_store_dwordx2 v[0:1], v[19:20], off
	v_lshlrev_b64 v[0:1], 3, v[5:6]
	v_mad_u64_u32 v[5:6], s[2:3], s21, v14, v[2:3]
	v_add_u32_e32 v13, 0x294, v24
	v_add_co_u32_e32 v0, vcc, v21, v0
	v_mov_b32_e32 v18, v5
	v_mad_u64_u32 v[5:6], s[2:3], s20, v13, 0
	v_addc_co_u32_e32 v1, vcc, v33, v1, vcc
	v_mov_b32_e32 v2, v6
	v_mad_u64_u32 v[13:14], s[2:3], s21, v13, v[2:3]
	v_add_u32_e32 v14, 0x3de, v24
	global_store_dwordx2 v[0:1], v[38:39], off
	v_lshlrev_b64 v[0:1], 3, v[17:18]
	v_mad_u64_u32 v[17:18], s[2:3], s20, v14, 0
	v_add_co_u32_e32 v0, vcc, v21, v0
	v_fmac_f32_e32 v37, 0x3e9e377a, v57
	v_fmac_f32_e32 v36, 0x3e9e377a, v58
	v_addc_co_u32_e32 v1, vcc, v33, v1, vcc
	v_mov_b32_e32 v6, v13
	v_mov_b32_e32 v2, v18
	global_store_dwordx2 v[0:1], v[36:37], off
	v_lshlrev_b64 v[0:1], 3, v[5:6]
	v_mad_u64_u32 v[5:6], s[2:3], s21, v14, v[2:3]
	v_add_co_u32_e32 v0, vcc, v21, v0
	v_fmac_f32_e32 v23, 0x3e9e377a, v56
	v_addc_co_u32_e32 v1, vcc, v33, v1, vcc
	v_mov_b32_e32 v18, v5
	v_add_u32_e32 v13, 0x528, v24
	global_store_dwordx2 v[0:1], v[22:23], off
	v_lshlrev_b64 v[0:1], 3, v[17:18]
	v_mad_u64_u32 v[5:6], s[2:3], s20, v13, 0
	v_add_u32_e32 v17, 0xdc, v63
	v_mul_hi_u32 v18, v17, s0
	v_mov_b32_e32 v2, v6
	v_mad_u64_u32 v[13:14], s[0:1], s21, v13, v[2:3]
	v_lshrrev_b32_e32 v2, 7, v18
	v_mul_u32_u24_e32 v6, 0x14a, v2
	v_sub_u32_e32 v6, v17, v6
	v_mad_u32_u24 v19, v2, s4, v6
	v_mad_u64_u32 v[17:18], s[0:1], s20, v19, 0
	v_add_co_u32_e32 v0, vcc, v21, v0
	v_fmac_f32_e32 v27, 0x3e9e377a, v56
	v_addc_co_u32_e32 v1, vcc, v33, v1, vcc
	v_mov_b32_e32 v6, v13
	v_mov_b32_e32 v2, v18
	global_store_dwordx2 v[0:1], v[26:27], off
	v_lshlrev_b64 v[0:1], 3, v[5:6]
	v_mad_u64_u32 v[5:6], s[0:1], s21, v19, v[2:3]
	v_add_u32_e32 v13, 0x14a, v19
	v_add_co_u32_e32 v0, vcc, v21, v0
	v_mov_b32_e32 v18, v5
	v_mad_u64_u32 v[5:6], s[0:1], s20, v13, 0
	v_fmac_f32_e32 v35, 0x3e9e377a, v57
	v_fmac_f32_e32 v34, 0x3e9e377a, v58
	v_mov_b32_e32 v2, v6
	v_mad_u64_u32 v[13:14], s[0:1], s21, v13, v[2:3]
	v_addc_co_u32_e32 v1, vcc, v33, v1, vcc
	v_add_u32_e32 v14, 0x294, v19
	global_store_dwordx2 v[0:1], v[34:35], off
	v_lshlrev_b64 v[0:1], 3, v[17:18]
	v_mad_u64_u32 v[17:18], s[0:1], s20, v14, 0
	v_add_co_u32_e32 v0, vcc, v21, v0
	v_addc_co_u32_e32 v1, vcc, v33, v1, vcc
	v_mov_b32_e32 v6, v13
	global_store_dwordx2 v[0:1], v[15:16], off
	v_lshlrev_b64 v[0:1], 3, v[5:6]
	v_mov_b32_e32 v2, v18
	v_mad_u64_u32 v[5:6], s[0:1], s21, v14, v[2:3]
	v_add_co_u32_e32 v0, vcc, v21, v0
	v_addc_co_u32_e32 v1, vcc, v33, v1, vcc
	global_store_dwordx2 v[0:1], v[11:12], off
	v_add_u32_e32 v11, 0x3de, v19
	v_mov_b32_e32 v18, v5
	v_mad_u64_u32 v[5:6], s[0:1], s20, v11, 0
	v_add_u32_e32 v14, 0x528, v19
	v_lshlrev_b64 v[0:1], 3, v[17:18]
	v_mov_b32_e32 v2, v6
	v_mad_u64_u32 v[11:12], s[0:1], s21, v11, v[2:3]
	v_mad_u64_u32 v[12:13], s[0:1], s20, v14, 0
	v_add_co_u32_e32 v0, vcc, v21, v0
	v_addc_co_u32_e32 v1, vcc, v33, v1, vcc
	v_mov_b32_e32 v6, v11
	v_mov_b32_e32 v2, v13
	global_store_dwordx2 v[0:1], v[9:10], off
	v_lshlrev_b64 v[0:1], 3, v[5:6]
	v_mad_u64_u32 v[5:6], s[0:1], s21, v14, v[2:3]
	v_add_co_u32_e32 v0, vcc, v21, v0
	v_addc_co_u32_e32 v1, vcc, v33, v1, vcc
	v_mov_b32_e32 v13, v5
	global_store_dwordx2 v[0:1], v[7:8], off
	v_lshlrev_b64 v[0:1], 3, v[12:13]
	v_add_co_u32_e32 v0, vcc, v21, v0
	v_addc_co_u32_e32 v1, vcc, v33, v1, vcc
	global_store_dwordx2 v[0:1], v[3:4], off
.LBB0_29:
	s_endpgm
	.section	.rodata,"a",@progbits
	.p2align	6, 0x0
	.amdhsa_kernel fft_rtc_fwd_len1650_factors_11_2_3_5_5_wgs_110_tpt_110_halfLds_sp_op_CI_CI_sbrr_dirReg
		.amdhsa_group_segment_fixed_size 0
		.amdhsa_private_segment_fixed_size 0
		.amdhsa_kernarg_size 104
		.amdhsa_user_sgpr_count 6
		.amdhsa_user_sgpr_private_segment_buffer 1
		.amdhsa_user_sgpr_dispatch_ptr 0
		.amdhsa_user_sgpr_queue_ptr 0
		.amdhsa_user_sgpr_kernarg_segment_ptr 1
		.amdhsa_user_sgpr_dispatch_id 0
		.amdhsa_user_sgpr_flat_scratch_init 0
		.amdhsa_user_sgpr_private_segment_size 0
		.amdhsa_uses_dynamic_stack 0
		.amdhsa_system_sgpr_private_segment_wavefront_offset 0
		.amdhsa_system_sgpr_workgroup_id_x 1
		.amdhsa_system_sgpr_workgroup_id_y 0
		.amdhsa_system_sgpr_workgroup_id_z 0
		.amdhsa_system_sgpr_workgroup_info 0
		.amdhsa_system_vgpr_workitem_id 0
		.amdhsa_next_free_vgpr 88
		.amdhsa_next_free_sgpr 32
		.amdhsa_reserve_vcc 1
		.amdhsa_reserve_flat_scratch 0
		.amdhsa_float_round_mode_32 0
		.amdhsa_float_round_mode_16_64 0
		.amdhsa_float_denorm_mode_32 3
		.amdhsa_float_denorm_mode_16_64 3
		.amdhsa_dx10_clamp 1
		.amdhsa_ieee_mode 1
		.amdhsa_fp16_overflow 0
		.amdhsa_exception_fp_ieee_invalid_op 0
		.amdhsa_exception_fp_denorm_src 0
		.amdhsa_exception_fp_ieee_div_zero 0
		.amdhsa_exception_fp_ieee_overflow 0
		.amdhsa_exception_fp_ieee_underflow 0
		.amdhsa_exception_fp_ieee_inexact 0
		.amdhsa_exception_int_div_zero 0
	.end_amdhsa_kernel
	.text
.Lfunc_end0:
	.size	fft_rtc_fwd_len1650_factors_11_2_3_5_5_wgs_110_tpt_110_halfLds_sp_op_CI_CI_sbrr_dirReg, .Lfunc_end0-fft_rtc_fwd_len1650_factors_11_2_3_5_5_wgs_110_tpt_110_halfLds_sp_op_CI_CI_sbrr_dirReg
                                        ; -- End function
	.section	.AMDGPU.csdata,"",@progbits
; Kernel info:
; codeLenInByte = 14252
; NumSgprs: 36
; NumVgprs: 88
; ScratchSize: 0
; MemoryBound: 0
; FloatMode: 240
; IeeeMode: 1
; LDSByteSize: 0 bytes/workgroup (compile time only)
; SGPRBlocks: 4
; VGPRBlocks: 21
; NumSGPRsForWavesPerEU: 36
; NumVGPRsForWavesPerEU: 88
; Occupancy: 2
; WaveLimiterHint : 1
; COMPUTE_PGM_RSRC2:SCRATCH_EN: 0
; COMPUTE_PGM_RSRC2:USER_SGPR: 6
; COMPUTE_PGM_RSRC2:TRAP_HANDLER: 0
; COMPUTE_PGM_RSRC2:TGID_X_EN: 1
; COMPUTE_PGM_RSRC2:TGID_Y_EN: 0
; COMPUTE_PGM_RSRC2:TGID_Z_EN: 0
; COMPUTE_PGM_RSRC2:TIDIG_COMP_CNT: 0
	.type	__hip_cuid_603779c81dd6df8,@object ; @__hip_cuid_603779c81dd6df8
	.section	.bss,"aw",@nobits
	.globl	__hip_cuid_603779c81dd6df8
__hip_cuid_603779c81dd6df8:
	.byte	0                               ; 0x0
	.size	__hip_cuid_603779c81dd6df8, 1

	.ident	"AMD clang version 19.0.0git (https://github.com/RadeonOpenCompute/llvm-project roc-6.4.0 25133 c7fe45cf4b819c5991fe208aaa96edf142730f1d)"
	.section	".note.GNU-stack","",@progbits
	.addrsig
	.addrsig_sym __hip_cuid_603779c81dd6df8
	.amdgpu_metadata
---
amdhsa.kernels:
  - .args:
      - .actual_access:  read_only
        .address_space:  global
        .offset:         0
        .size:           8
        .value_kind:     global_buffer
      - .offset:         8
        .size:           8
        .value_kind:     by_value
      - .actual_access:  read_only
        .address_space:  global
        .offset:         16
        .size:           8
        .value_kind:     global_buffer
      - .actual_access:  read_only
        .address_space:  global
        .offset:         24
        .size:           8
        .value_kind:     global_buffer
      - .actual_access:  read_only
        .address_space:  global
        .offset:         32
        .size:           8
        .value_kind:     global_buffer
      - .offset:         40
        .size:           8
        .value_kind:     by_value
      - .actual_access:  read_only
        .address_space:  global
        .offset:         48
        .size:           8
        .value_kind:     global_buffer
      - .actual_access:  read_only
        .address_space:  global
        .offset:         56
        .size:           8
        .value_kind:     global_buffer
      - .offset:         64
        .size:           4
        .value_kind:     by_value
      - .actual_access:  read_only
        .address_space:  global
        .offset:         72
        .size:           8
        .value_kind:     global_buffer
      - .actual_access:  read_only
        .address_space:  global
        .offset:         80
        .size:           8
        .value_kind:     global_buffer
      - .actual_access:  read_only
        .address_space:  global
        .offset:         88
        .size:           8
        .value_kind:     global_buffer
      - .actual_access:  write_only
        .address_space:  global
        .offset:         96
        .size:           8
        .value_kind:     global_buffer
    .group_segment_fixed_size: 0
    .kernarg_segment_align: 8
    .kernarg_segment_size: 104
    .language:       OpenCL C
    .language_version:
      - 2
      - 0
    .max_flat_workgroup_size: 110
    .name:           fft_rtc_fwd_len1650_factors_11_2_3_5_5_wgs_110_tpt_110_halfLds_sp_op_CI_CI_sbrr_dirReg
    .private_segment_fixed_size: 0
    .sgpr_count:     36
    .sgpr_spill_count: 0
    .symbol:         fft_rtc_fwd_len1650_factors_11_2_3_5_5_wgs_110_tpt_110_halfLds_sp_op_CI_CI_sbrr_dirReg.kd
    .uniform_work_group_size: 1
    .uses_dynamic_stack: false
    .vgpr_count:     88
    .vgpr_spill_count: 0
    .wavefront_size: 64
amdhsa.target:   amdgcn-amd-amdhsa--gfx906
amdhsa.version:
  - 1
  - 2
...

	.end_amdgpu_metadata
